;; amdgpu-corpus repo=ROCm/rocFFT kind=compiled arch=gfx1030 opt=O3
	.text
	.amdgcn_target "amdgcn-amd-amdhsa--gfx1030"
	.amdhsa_code_object_version 6
	.protected	fft_rtc_fwd_len182_factors_13_2_7_wgs_52_tpt_13_dp_op_CI_CI_sbrr_dirReg ; -- Begin function fft_rtc_fwd_len182_factors_13_2_7_wgs_52_tpt_13_dp_op_CI_CI_sbrr_dirReg
	.globl	fft_rtc_fwd_len182_factors_13_2_7_wgs_52_tpt_13_dp_op_CI_CI_sbrr_dirReg
	.p2align	8
	.type	fft_rtc_fwd_len182_factors_13_2_7_wgs_52_tpt_13_dp_op_CI_CI_sbrr_dirReg,@function
fft_rtc_fwd_len182_factors_13_2_7_wgs_52_tpt_13_dp_op_CI_CI_sbrr_dirReg: ; @fft_rtc_fwd_len182_factors_13_2_7_wgs_52_tpt_13_dp_op_CI_CI_sbrr_dirReg
; %bb.0:
	s_clause 0x2
	s_load_dwordx4 s[16:19], s[4:5], 0x18
	s_load_dwordx4 s[12:15], s[4:5], 0x0
	;; [unrolled: 1-line block ×3, first 2 shown]
	v_mul_u32_u24_e32 v1, 0x13b2, v0
	v_mov_b32_e32 v4, 0
	v_mov_b32_e32 v5, 0
	s_waitcnt lgkmcnt(0)
	s_load_dwordx2 s[20:21], s[16:17], 0x0
	s_load_dwordx2 s[2:3], s[18:19], 0x0
	v_lshrrev_b32_e32 v111, 16, v1
	v_mov_b32_e32 v1, 0
	v_cmp_lt_u64_e64 s0, s[14:15], 2
	v_lshl_add_u32 v6, s6, 2, v111
	v_mov_b32_e32 v7, v1
	s_and_b32 vcc_lo, exec_lo, s0
	s_cbranch_vccnz .LBB0_8
; %bb.1:
	s_load_dwordx2 s[0:1], s[4:5], 0x10
	v_mov_b32_e32 v4, 0
	v_mov_b32_e32 v5, 0
	s_add_u32 s6, s18, 8
	s_addc_u32 s7, s19, 0
	s_add_u32 s22, s16, 8
	s_addc_u32 s23, s17, 0
	v_mov_b32_e32 v105, v5
	v_mov_b32_e32 v104, v4
	s_mov_b64 s[26:27], 1
	s_waitcnt lgkmcnt(0)
	s_add_u32 s24, s0, 8
	s_addc_u32 s25, s1, 0
.LBB0_2:                                ; =>This Inner Loop Header: Depth=1
	s_load_dwordx2 s[28:29], s[24:25], 0x0
                                        ; implicit-def: $vgpr106_vgpr107
	s_mov_b32 s0, exec_lo
	s_waitcnt lgkmcnt(0)
	v_or_b32_e32 v2, s29, v7
	v_cmpx_ne_u64_e32 0, v[1:2]
	s_xor_b32 s1, exec_lo, s0
	s_cbranch_execz .LBB0_4
; %bb.3:                                ;   in Loop: Header=BB0_2 Depth=1
	v_cvt_f32_u32_e32 v2, s28
	v_cvt_f32_u32_e32 v3, s29
	s_sub_u32 s0, 0, s28
	s_subb_u32 s30, 0, s29
	v_fmac_f32_e32 v2, 0x4f800000, v3
	v_rcp_f32_e32 v2, v2
	v_mul_f32_e32 v2, 0x5f7ffffc, v2
	v_mul_f32_e32 v3, 0x2f800000, v2
	v_trunc_f32_e32 v3, v3
	v_fmac_f32_e32 v2, 0xcf800000, v3
	v_cvt_u32_f32_e32 v3, v3
	v_cvt_u32_f32_e32 v2, v2
	v_mul_lo_u32 v8, s0, v3
	v_mul_hi_u32 v9, s0, v2
	v_mul_lo_u32 v10, s30, v2
	v_add_nc_u32_e32 v8, v9, v8
	v_mul_lo_u32 v9, s0, v2
	v_add_nc_u32_e32 v8, v8, v10
	v_mul_hi_u32 v10, v2, v9
	v_mul_lo_u32 v11, v2, v8
	v_mul_hi_u32 v12, v2, v8
	v_mul_hi_u32 v13, v3, v9
	v_mul_lo_u32 v9, v3, v9
	v_mul_hi_u32 v14, v3, v8
	v_mul_lo_u32 v8, v3, v8
	v_add_co_u32 v10, vcc_lo, v10, v11
	v_add_co_ci_u32_e32 v11, vcc_lo, 0, v12, vcc_lo
	v_add_co_u32 v9, vcc_lo, v10, v9
	v_add_co_ci_u32_e32 v9, vcc_lo, v11, v13, vcc_lo
	v_add_co_ci_u32_e32 v10, vcc_lo, 0, v14, vcc_lo
	v_add_co_u32 v8, vcc_lo, v9, v8
	v_add_co_ci_u32_e32 v9, vcc_lo, 0, v10, vcc_lo
	v_add_co_u32 v2, vcc_lo, v2, v8
	v_add_co_ci_u32_e32 v3, vcc_lo, v3, v9, vcc_lo
	v_mul_hi_u32 v8, s0, v2
	v_mul_lo_u32 v10, s30, v2
	v_mul_lo_u32 v9, s0, v3
	v_add_nc_u32_e32 v8, v8, v9
	v_mul_lo_u32 v9, s0, v2
	v_add_nc_u32_e32 v8, v8, v10
	v_mul_hi_u32 v10, v2, v9
	v_mul_lo_u32 v11, v2, v8
	v_mul_hi_u32 v12, v2, v8
	v_mul_hi_u32 v13, v3, v9
	v_mul_lo_u32 v9, v3, v9
	v_mul_hi_u32 v14, v3, v8
	v_mul_lo_u32 v8, v3, v8
	v_add_co_u32 v10, vcc_lo, v10, v11
	v_add_co_ci_u32_e32 v11, vcc_lo, 0, v12, vcc_lo
	v_add_co_u32 v9, vcc_lo, v10, v9
	v_add_co_ci_u32_e32 v9, vcc_lo, v11, v13, vcc_lo
	v_add_co_ci_u32_e32 v10, vcc_lo, 0, v14, vcc_lo
	v_add_co_u32 v8, vcc_lo, v9, v8
	v_add_co_ci_u32_e32 v9, vcc_lo, 0, v10, vcc_lo
	v_add_co_u32 v8, vcc_lo, v2, v8
	v_add_co_ci_u32_e32 v10, vcc_lo, v3, v9, vcc_lo
	v_mul_hi_u32 v12, v6, v8
	v_mad_u64_u32 v[8:9], null, v7, v8, 0
	v_mad_u64_u32 v[2:3], null, v6, v10, 0
	;; [unrolled: 1-line block ×3, first 2 shown]
	v_add_co_u32 v2, vcc_lo, v12, v2
	v_add_co_ci_u32_e32 v3, vcc_lo, 0, v3, vcc_lo
	v_add_co_u32 v2, vcc_lo, v2, v8
	v_add_co_ci_u32_e32 v2, vcc_lo, v3, v9, vcc_lo
	v_add_co_ci_u32_e32 v3, vcc_lo, 0, v11, vcc_lo
	v_add_co_u32 v8, vcc_lo, v2, v10
	v_add_co_ci_u32_e32 v9, vcc_lo, 0, v3, vcc_lo
	v_mul_lo_u32 v10, s29, v8
	v_mad_u64_u32 v[2:3], null, s28, v8, 0
	v_mul_lo_u32 v11, s28, v9
	v_sub_co_u32 v2, vcc_lo, v6, v2
	v_add3_u32 v3, v3, v11, v10
	v_sub_nc_u32_e32 v10, v7, v3
	v_subrev_co_ci_u32_e64 v10, s0, s29, v10, vcc_lo
	v_add_co_u32 v11, s0, v8, 2
	v_add_co_ci_u32_e64 v12, s0, 0, v9, s0
	v_sub_co_u32 v13, s0, v2, s28
	v_sub_co_ci_u32_e32 v3, vcc_lo, v7, v3, vcc_lo
	v_subrev_co_ci_u32_e64 v10, s0, 0, v10, s0
	v_cmp_le_u32_e32 vcc_lo, s28, v13
	v_cmp_eq_u32_e64 s0, s29, v3
	v_cndmask_b32_e64 v13, 0, -1, vcc_lo
	v_cmp_le_u32_e32 vcc_lo, s29, v10
	v_cndmask_b32_e64 v14, 0, -1, vcc_lo
	v_cmp_le_u32_e32 vcc_lo, s28, v2
	v_cndmask_b32_e64 v2, 0, -1, vcc_lo
	v_cmp_le_u32_e32 vcc_lo, s29, v3
	v_cndmask_b32_e64 v15, 0, -1, vcc_lo
	v_cmp_eq_u32_e32 vcc_lo, s29, v10
	v_cndmask_b32_e64 v2, v15, v2, s0
	v_cndmask_b32_e32 v10, v14, v13, vcc_lo
	v_add_co_u32 v13, vcc_lo, v8, 1
	v_add_co_ci_u32_e32 v14, vcc_lo, 0, v9, vcc_lo
	v_cmp_ne_u32_e32 vcc_lo, 0, v10
	v_cndmask_b32_e32 v3, v14, v12, vcc_lo
	v_cndmask_b32_e32 v10, v13, v11, vcc_lo
	v_cmp_ne_u32_e32 vcc_lo, 0, v2
	v_cndmask_b32_e32 v107, v9, v3, vcc_lo
	v_cndmask_b32_e32 v106, v8, v10, vcc_lo
.LBB0_4:                                ;   in Loop: Header=BB0_2 Depth=1
	s_andn2_saveexec_b32 s0, s1
	s_cbranch_execz .LBB0_6
; %bb.5:                                ;   in Loop: Header=BB0_2 Depth=1
	v_cvt_f32_u32_e32 v2, s28
	s_sub_i32 s1, 0, s28
	v_mov_b32_e32 v107, v1
	v_rcp_iflag_f32_e32 v2, v2
	v_mul_f32_e32 v2, 0x4f7ffffe, v2
	v_cvt_u32_f32_e32 v2, v2
	v_mul_lo_u32 v3, s1, v2
	v_mul_hi_u32 v3, v2, v3
	v_add_nc_u32_e32 v2, v2, v3
	v_mul_hi_u32 v2, v6, v2
	v_mul_lo_u32 v3, v2, s28
	v_add_nc_u32_e32 v8, 1, v2
	v_sub_nc_u32_e32 v3, v6, v3
	v_subrev_nc_u32_e32 v9, s28, v3
	v_cmp_le_u32_e32 vcc_lo, s28, v3
	v_cndmask_b32_e32 v3, v3, v9, vcc_lo
	v_cndmask_b32_e32 v2, v2, v8, vcc_lo
	v_cmp_le_u32_e32 vcc_lo, s28, v3
	v_add_nc_u32_e32 v8, 1, v2
	v_cndmask_b32_e32 v106, v2, v8, vcc_lo
.LBB0_6:                                ;   in Loop: Header=BB0_2 Depth=1
	s_or_b32 exec_lo, exec_lo, s0
	v_mul_lo_u32 v8, v107, s28
	v_mul_lo_u32 v9, v106, s29
	s_load_dwordx2 s[0:1], s[22:23], 0x0
	v_mad_u64_u32 v[2:3], null, v106, s28, 0
	s_load_dwordx2 s[28:29], s[6:7], 0x0
	s_add_u32 s26, s26, 1
	s_addc_u32 s27, s27, 0
	s_add_u32 s6, s6, 8
	s_addc_u32 s7, s7, 0
	s_add_u32 s22, s22, 8
	v_add3_u32 v3, v3, v9, v8
	v_sub_co_u32 v2, vcc_lo, v6, v2
	s_addc_u32 s23, s23, 0
	s_add_u32 s24, s24, 8
	v_sub_co_ci_u32_e32 v3, vcc_lo, v7, v3, vcc_lo
	s_addc_u32 s25, s25, 0
	s_waitcnt lgkmcnt(0)
	v_mul_lo_u32 v6, s0, v3
	v_mul_lo_u32 v7, s1, v2
	v_mad_u64_u32 v[4:5], null, s0, v2, v[4:5]
	v_mul_lo_u32 v3, s28, v3
	v_mul_lo_u32 v8, s29, v2
	v_mad_u64_u32 v[104:105], null, s28, v2, v[104:105]
	v_cmp_ge_u64_e64 s0, s[26:27], s[14:15]
	v_add3_u32 v5, v7, v5, v6
	v_add3_u32 v105, v8, v105, v3
	s_and_b32 vcc_lo, exec_lo, s0
	s_cbranch_vccnz .LBB0_9
; %bb.7:                                ;   in Loop: Header=BB0_2 Depth=1
	v_mov_b32_e32 v6, v106
	v_mov_b32_e32 v7, v107
	s_branch .LBB0_2
.LBB0_8:
	v_mov_b32_e32 v105, v5
	v_mov_b32_e32 v107, v7
	;; [unrolled: 1-line block ×4, first 2 shown]
.LBB0_9:
	s_load_dwordx2 s[0:1], s[4:5], 0x28
	v_mul_hi_u32 v1, 0x13b13b14, v0
	s_lshl_b64 s[6:7], s[14:15], 3
                                        ; implicit-def: $vgpr108
	s_add_u32 s4, s18, s6
	s_addc_u32 s5, s19, s7
	s_waitcnt lgkmcnt(0)
	v_cmp_gt_u64_e32 vcc_lo, s[0:1], v[106:107]
	v_cmp_le_u64_e64 s0, s[0:1], v[106:107]
	s_and_saveexec_b32 s1, s0
	s_xor_b32 s0, exec_lo, s1
; %bb.10:
	v_mul_u32_u24_e32 v1, 13, v1
                                        ; implicit-def: $vgpr4_vgpr5
	v_sub_nc_u32_e32 v108, v0, v1
                                        ; implicit-def: $vgpr1
                                        ; implicit-def: $vgpr0
; %bb.11:
	s_or_saveexec_b32 s1, s0
	s_load_dwordx2 s[4:5], s[4:5], 0x0
                                        ; implicit-def: $vgpr6_vgpr7
                                        ; implicit-def: $vgpr10_vgpr11
                                        ; implicit-def: $vgpr14_vgpr15
                                        ; implicit-def: $vgpr18_vgpr19
                                        ; implicit-def: $vgpr26_vgpr27
                                        ; implicit-def: $vgpr34_vgpr35
                                        ; implicit-def: $vgpr38_vgpr39
                                        ; implicit-def: $vgpr42_vgpr43
                                        ; implicit-def: $vgpr22_vgpr23
                                        ; implicit-def: $vgpr30_vgpr31
                                        ; implicit-def: $vgpr46_vgpr47
                                        ; implicit-def: $vgpr50_vgpr51
                                        ; implicit-def: $vgpr2_vgpr3
                                        ; implicit-def: $vgpr74_vgpr75
                                        ; implicit-def: $vgpr78_vgpr79
                                        ; implicit-def: $vgpr82_vgpr83
                                        ; implicit-def: $vgpr86_vgpr87
                                        ; implicit-def: $vgpr66_vgpr67
                                        ; implicit-def: $vgpr58_vgpr59
                                        ; implicit-def: $vgpr54_vgpr55
                                        ; implicit-def: $vgpr62_vgpr63
                                        ; implicit-def: $vgpr90_vgpr91
                                        ; implicit-def: $vgpr94_vgpr95
                                        ; implicit-def: $vgpr98_vgpr99
                                        ; implicit-def: $vgpr102_vgpr103
                                        ; implicit-def: $vgpr70_vgpr71
	s_xor_b32 exec_lo, exec_lo, s1
	s_cbranch_execz .LBB0_15
; %bb.12:
	s_add_u32 s6, s16, s6
	s_addc_u32 s7, s17, s7
	v_mul_u32_u24_e32 v1, 13, v1
	s_load_dwordx2 s[6:7], s[6:7], 0x0
	v_lshlrev_b64 v[4:5], 4, v[4:5]
                                        ; implicit-def: $vgpr48_vgpr49
                                        ; implicit-def: $vgpr44_vgpr45
                                        ; implicit-def: $vgpr28_vgpr29
                                        ; implicit-def: $vgpr40_vgpr41
                                        ; implicit-def: $vgpr36_vgpr37
                                        ; implicit-def: $vgpr32_vgpr33
                                        ; implicit-def: $vgpr24_vgpr25
	v_sub_nc_u32_e32 v108, v0, v1
	v_add_nc_u32_e32 v14, 14, v108
	v_mad_u64_u32 v[0:1], null, s20, v108, 0
	v_add_nc_u32_e32 v15, 28, v108
	v_add_nc_u32_e32 v16, 42, v108
	v_mad_u64_u32 v[2:3], null, s20, v14, 0
	v_add_nc_u32_e32 v19, 56, v108
	v_mad_u64_u32 v[8:9], null, s20, v15, 0
	v_mad_u64_u32 v[10:11], null, s20, v16, 0
	s_waitcnt lgkmcnt(0)
	v_mul_lo_u32 v17, s7, v106
	v_mul_lo_u32 v18, s6, v107
	v_mad_u64_u32 v[6:7], null, s6, v106, 0
	v_mad_u64_u32 v[12:13], null, s21, v108, v[1:2]
	v_add_nc_u32_e32 v20, 0x9a, v108
	s_mov_b32 s6, exec_lo
	v_add3_u32 v7, v7, v18, v17
	v_add_nc_u32_e32 v17, 0x62, v108
	v_mov_b32_e32 v1, v12
	v_mad_u64_u32 v[12:13], null, s21, v14, v[3:4]
	v_lshlrev_b64 v[6:7], 4, v[6:7]
	v_mad_u64_u32 v[13:14], null, s21, v15, v[9:10]
	v_lshlrev_b64 v[0:1], 4, v[0:1]
	v_mad_u64_u32 v[14:15], null, s20, v19, 0
	v_add_co_u32 v6, s0, s8, v6
	v_add_co_ci_u32_e64 v7, s0, s9, v7, s0
	v_mov_b32_e32 v3, v12
	v_add_co_u32 v6, s0, v6, v4
	v_add_co_ci_u32_e64 v7, s0, v7, v5, s0
	v_lshlrev_b64 v[2:3], 4, v[2:3]
	v_add_co_u32 v0, s0, v6, v0
	v_mad_u64_u32 v[4:5], null, s21, v16, v[11:12]
	v_add_co_ci_u32_e64 v1, s0, v7, v1, s0
	v_add_co_u32 v2, s0, v6, v2
	v_mov_b32_e32 v9, v13
	v_add_nc_u32_e32 v13, 0x46, v108
	v_add_co_ci_u32_e64 v3, s0, v7, v3, s0
	s_clause 0x1
	global_load_dwordx4 v[68:71], v[0:1], off
	global_load_dwordx4 v[100:103], v[2:3], off
	v_mov_b32_e32 v11, v4
	v_mad_u64_u32 v[3:4], null, s20, v13, 0
	v_lshlrev_b64 v[0:1], 4, v[8:9]
	v_mov_b32_e32 v2, v15
	v_lshlrev_b64 v[8:9], 4, v[10:11]
	v_add_nc_u32_e32 v16, 0x54, v108
	v_add_co_u32 v0, s0, v6, v0
	v_mad_u64_u32 v[10:11], null, s21, v19, v[2:3]
	v_mov_b32_e32 v2, v4
	v_add_co_ci_u32_e64 v1, s0, v7, v1, s0
	v_add_co_u32 v4, s0, v6, v8
	v_mad_u64_u32 v[11:12], null, s20, v16, 0
	v_add_co_ci_u32_e64 v5, s0, v7, v9, s0
	v_mad_u64_u32 v[8:9], null, s21, v13, v[2:3]
	v_mov_b32_e32 v15, v10
	v_mad_u64_u32 v[9:10], null, s20, v17, 0
	v_mov_b32_e32 v2, v12
	s_clause 0x1
	global_load_dwordx4 v[96:99], v[0:1], off
	global_load_dwordx4 v[92:95], v[4:5], off
	v_lshlrev_b64 v[0:1], 4, v[14:15]
	v_mov_b32_e32 v4, v8
	v_or_b32_e32 v8, 0x70, v108
	v_mad_u64_u32 v[12:13], null, s21, v16, v[2:3]
	v_mov_b32_e32 v2, v10
	v_lshlrev_b64 v[3:4], 4, v[3:4]
	v_add_co_u32 v0, s0, v6, v0
	v_add_co_ci_u32_e64 v1, s0, v7, v1, s0
	v_add_nc_u32_e32 v19, 0x8c, v108
	v_mad_u64_u32 v[13:14], null, s21, v17, v[2:3]
	v_add_co_u32 v2, s0, v6, v3
	v_add_co_ci_u32_e64 v3, s0, v7, v4, s0
	v_lshlrev_b64 v[4:5], 4, v[11:12]
	v_mad_u64_u32 v[11:12], null, s20, v8, 0
	v_mov_b32_e32 v10, v13
	s_clause 0x1
	global_load_dwordx4 v[88:91], v[0:1], off
	global_load_dwordx4 v[60:63], v[2:3], off
	v_add_nc_u32_e32 v17, 0x7e, v108
	v_add_co_u32 v0, s0, v6, v4
	v_lshlrev_b64 v[3:4], 4, v[9:10]
	v_mov_b32_e32 v2, v12
	v_mad_u64_u32 v[13:14], null, s20, v19, 0
	v_add_co_ci_u32_e64 v1, s0, v7, v5, s0
	v_mad_u64_u32 v[8:9], null, s21, v8, v[2:3]
	v_mad_u64_u32 v[9:10], null, s20, v17, 0
	v_add_co_u32 v2, s0, v6, v3
	v_add_co_ci_u32_e64 v3, s0, v7, v4, s0
	v_mov_b32_e32 v5, v14
	v_mov_b32_e32 v12, v8
	;; [unrolled: 1-line block ×3, first 2 shown]
	v_mad_u64_u32 v[15:16], null, s20, v20, 0
	v_add_nc_u32_e32 v8, 0xa8, v108
	s_clause 0x1
	global_load_dwordx4 v[52:55], v[0:1], off
	global_load_dwordx4 v[56:59], v[2:3], off
	v_mad_u64_u32 v[17:18], null, s21, v17, v[4:5]
	v_mad_u64_u32 v[4:5], null, s21, v19, v[5:6]
	;; [unrolled: 1-line block ×3, first 2 shown]
	v_lshlrev_b64 v[1:2], 4, v[11:12]
	v_mov_b32_e32 v0, v16
	v_mov_b32_e32 v10, v17
	v_mov_b32_e32 v14, v4
	v_mad_u64_u32 v[3:4], null, s21, v20, v[0:1]
	v_mov_b32_e32 v0, v19
	v_add_co_u32 v1, s0, v6, v1
	v_lshlrev_b64 v[4:5], 4, v[9:10]
	v_add_co_ci_u32_e64 v2, s0, v7, v2, s0
	v_mad_u64_u32 v[8:9], null, s21, v8, v[0:1]
	v_mov_b32_e32 v16, v3
	v_lshlrev_b64 v[9:10], 4, v[13:14]
	v_add_co_u32 v3, s0, v6, v4
	v_add_co_ci_u32_e64 v4, s0, v7, v5, s0
	v_mov_b32_e32 v19, v8
	v_lshlrev_b64 v[11:12], 4, v[15:16]
	v_add_co_u32 v8, s0, v6, v9
	v_add_co_ci_u32_e64 v9, s0, v7, v10, s0
	v_lshlrev_b64 v[13:14], 4, v[18:19]
	v_add_co_u32 v10, s0, v6, v11
	v_add_co_ci_u32_e64 v11, s0, v7, v12, s0
                                        ; implicit-def: $vgpr20_vgpr21
                                        ; implicit-def: $vgpr16_vgpr17
	v_add_co_u32 v12, s0, v6, v13
	v_add_co_ci_u32_e64 v13, s0, v7, v14, s0
	s_clause 0x4
	global_load_dwordx4 v[64:67], v[1:2], off
	global_load_dwordx4 v[84:87], v[3:4], off
	;; [unrolled: 1-line block ×5, first 2 shown]
                                        ; implicit-def: $vgpr0_vgpr1
                                        ; implicit-def: $vgpr12_vgpr13
                                        ; implicit-def: $vgpr8_vgpr9
                                        ; implicit-def: $vgpr4_vgpr5
	v_cmpx_eq_u32_e32 0, v108
	s_cbranch_execz .LBB0_14
; %bb.13:
	v_mad_u64_u32 v[4:5], null, 0x1b0, s20, v[6:7]
	v_mad_u64_u32 v[8:9], null, 0x290, s20, v[6:7]
	;; [unrolled: 1-line block ×4, first 2 shown]
	v_mov_b32_e32 v2, v5
	v_mad_u64_u32 v[16:17], null, 0x610, s20, v[6:7]
	v_mov_b32_e32 v3, v9
	v_mad_u64_u32 v[24:25], null, 0x7d0, s20, v[6:7]
	v_mad_u64_u32 v[12:13], null, 0xd0, s21, v[1:2]
	;; [unrolled: 1-line block ×5, first 2 shown]
	v_mov_b32_e32 v3, v11
	v_mov_b32_e32 v1, v12
	;; [unrolled: 1-line block ×3, first 2 shown]
	v_mad_u64_u32 v[108:109], null, 0xa70, s20, v[6:7]
	v_mov_b32_e32 v9, v2
	v_mad_u64_u32 v[11:12], null, 0x370, s21, v[3:4]
	s_clause 0x2
	global_load_dwordx4 v[0:3], v[0:1], off
	global_load_dwordx4 v[48:51], v[4:5], off
	global_load_dwordx4 v[44:47], v[8:9], off
	v_mad_u64_u32 v[4:5], null, 0x450, s21, v[15:16]
	v_mad_u64_u32 v[12:13], null, 0x530, s20, v[6:7]
	;; [unrolled: 1-line block ×3, first 2 shown]
	v_mov_b32_e32 v15, v4
	s_clause 0x1
	global_load_dwordx4 v[28:31], v[10:11], off
	global_load_dwordx4 v[20:23], v[14:15], off
	v_mov_b32_e32 v5, v13
	v_mov_b32_e32 v13, v17
	v_mad_u64_u32 v[10:11], null, 0x8b0, s20, v[6:7]
	v_mov_b32_e32 v4, v9
	v_mad_u64_u32 v[17:18], null, 0x530, s21, v[5:6]
	v_mad_u64_u32 v[18:19], null, 0x610, s21, v[13:14]
	;; [unrolled: 1-line block ×5, first 2 shown]
	v_mov_b32_e32 v5, v25
	v_mov_b32_e32 v9, v11
	;; [unrolled: 1-line block ×4, first 2 shown]
	s_clause 0x1
	global_load_dwordx4 v[40:43], v[12:13], off
	global_load_dwordx4 v[36:39], v[16:17], off
	v_mad_u64_u32 v[18:19], null, 0x7d0, s21, v[5:6]
	v_mov_b32_e32 v5, v15
	v_mad_u64_u32 v[26:27], null, 0x8b0, s21, v[9:10]
	v_mov_b32_e32 v9, v109
	;; [unrolled: 2-line block ×3, first 2 shown]
	v_mad_u64_u32 v[33:34], null, 0xa70, s21, v[9:10]
	v_mad_u64_u32 v[34:35], null, 0xb50, s21, v[7:8]
	v_mov_b32_e32 v9, v4
	v_mov_b32_e32 v11, v26
	;; [unrolled: 1-line block ×5, first 2 shown]
	s_clause 0x5
	global_load_dwordx4 v[32:35], v[8:9], off
	global_load_dwordx4 v[24:27], v[24:25], off
	;; [unrolled: 1-line block ×6, first 2 shown]
	v_mov_b32_e32 v108, 0
.LBB0_14:
	s_or_b32 exec_lo, exec_lo, s6
.LBB0_15:
	s_or_b32 exec_lo, exec_lo, s1
	s_waitcnt vmcnt(11)
	v_add_f64 v[112:113], v[102:103], v[70:71]
	v_add_f64 v[109:110], v[100:101], v[68:69]
	s_waitcnt vmcnt(0)
	v_add_f64 v[116:117], v[72:73], v[100:101]
	v_add_f64 v[118:119], v[100:101], -v[72:73]
	v_add_f64 v[100:101], v[102:103], -v[74:75]
	s_mov_b32 s6, 0xe00740e9
	s_mov_b32 s8, 0x4267c47c
	;; [unrolled: 1-line block ×17, first 2 shown]
	v_add_f64 v[112:113], v[98:99], v[112:113]
	v_add_f64 v[114:115], v[96:97], v[109:110]
	;; [unrolled: 1-line block ×3, first 2 shown]
	s_mov_b32 s31, 0xbfefc445
	s_mov_b32 s19, 0xbfd6b1d8
	;; [unrolled: 1-line block ×9, first 2 shown]
	v_add_f64 v[122:123], v[96:97], -v[76:77]
	v_add_f64 v[124:125], v[80:81], v[92:93]
	v_add_f64 v[126:127], v[82:83], v[94:95]
	v_add_f64 v[128:129], v[92:93], -v[80:81]
	v_add_f64 v[130:131], v[94:95], -v[82:83]
	v_mul_f64 v[132:133], v[118:119], s[26:27]
	s_mov_b32 s40, 0x24c2f84
	s_mov_b32 s22, 0x93053d00
	;; [unrolled: 1-line block ×3, first 2 shown]
	v_mul_f64 v[134:135], v[116:117], s[16:17]
	v_add_f64 v[112:113], v[94:95], v[112:113]
	v_add_f64 v[102:103], v[92:93], v[114:115]
	;; [unrolled: 1-line block ×5, first 2 shown]
	v_add_f64 v[96:97], v[88:89], -v[84:85]
	v_mul_f64 v[136:137], v[118:119], s[28:29]
	v_mul_f64 v[138:139], v[116:117], s[14:15]
	;; [unrolled: 1-line block ×5, first 2 shown]
	s_mov_b32 s41, 0x3fe5384d
	s_mov_b32 s37, 0xbfe5384d
	;; [unrolled: 1-line block ×7, first 2 shown]
	v_mul_f64 v[146:147], v[116:117], s[20:21]
	v_mul_f64 v[148:149], v[118:119], s[36:37]
	;; [unrolled: 1-line block ×3, first 2 shown]
	v_add_f64 v[120:121], v[78:79], v[98:99]
	v_add_f64 v[112:113], v[90:91], v[112:113]
	;; [unrolled: 1-line block ×3, first 2 shown]
	v_add_f64 v[88:89], v[90:91], -v[86:87]
	v_mul_f64 v[90:91], v[116:117], s[6:7]
	v_mul_f64 v[116:117], v[116:117], s[22:23]
	v_add_f64 v[98:99], v[98:99], -v[78:79]
	v_mul_f64 v[150:151], v[114:115], s[16:17]
	v_mul_f64 v[152:153], v[114:115], s[18:19]
	;; [unrolled: 1-line block ×7, first 2 shown]
	v_fma_f64 v[200:201], v[109:110], s[6:7], v[132:133]
	v_mul_f64 v[162:163], v[122:123], s[34:35]
	v_mul_f64 v[164:165], v[122:123], s[38:39]
	;; [unrolled: 1-line block ×3, first 2 shown]
	v_fma_f64 v[132:133], v[109:110], s[6:7], -v[132:133]
	v_fma_f64 v[202:203], v[100:101], s[42:43], v[134:135]
	v_fma_f64 v[204:205], v[109:110], s[16:17], v[136:137]
	;; [unrolled: 1-line block ×3, first 2 shown]
	v_fma_f64 v[136:137], v[109:110], s[16:17], -v[136:137]
	v_add_f64 v[112:113], v[62:63], v[112:113]
	v_add_f64 v[102:103], v[60:61], v[102:103]
	v_fma_f64 v[206:207], v[100:101], s[24:25], v[138:139]
	v_fma_f64 v[198:199], v[100:101], s[8:9], v[90:91]
	;; [unrolled: 1-line block ×5, first 2 shown]
	v_fma_f64 v[140:141], v[109:110], s[14:15], -v[140:141]
	v_fma_f64 v[210:211], v[100:101], s[44:45], v[142:143]
	v_fma_f64 v[212:213], v[109:110], s[18:19], v[144:145]
	;; [unrolled: 1-line block ×4, first 2 shown]
	v_mul_f64 v[168:169], v[122:123], s[24:25]
	v_mul_f64 v[122:123], v[122:123], s[8:9]
	v_fma_f64 v[144:145], v[109:110], s[18:19], -v[144:145]
	v_fma_f64 v[216:217], v[109:110], s[20:21], v[148:149]
	v_fma_f64 v[146:147], v[100:101], s[36:37], v[146:147]
	v_fma_f64 v[148:149], v[109:110], s[20:21], -v[148:149]
	v_fma_f64 v[218:219], v[100:101], s[46:47], v[116:117]
	v_fma_f64 v[100:101], v[100:101], s[38:39], v[116:117]
	;; [unrolled: 1-line block ×3, first 2 shown]
	v_fma_f64 v[109:110], v[109:110], s[22:23], -v[118:119]
	v_add_f64 v[112:113], v[54:55], v[112:113]
	v_add_f64 v[102:103], v[52:53], v[102:103]
	v_mul_f64 v[170:171], v[124:125], s[14:15]
	v_mul_f64 v[172:173], v[128:129], s[30:31]
	v_fma_f64 v[118:119], v[98:99], s[42:43], v[150:151]
	v_fma_f64 v[150:151], v[98:99], s[28:29], v[150:151]
	;; [unrolled: 1-line block ×13, first 2 shown]
	v_add_f64 v[198:199], v[68:69], v[198:199]
	v_add_f64 v[200:201], v[70:71], v[200:201]
	v_mul_f64 v[174:175], v[124:125], s[22:23]
	v_mul_f64 v[176:177], v[128:129], s[38:39]
	;; [unrolled: 1-line block ×3, first 2 shown]
	v_add_f64 v[112:113], v[58:59], v[112:113]
	v_add_f64 v[102:103], v[56:57], v[102:103]
	v_mul_f64 v[180:181], v[128:129], s[44:45]
	v_mul_f64 v[182:183], v[124:125], s[6:7]
	;; [unrolled: 1-line block ×3, first 2 shown]
	v_fma_f64 v[160:161], v[120:121], s[16:17], -v[160:161]
	v_fma_f64 v[230:231], v[120:121], s[18:19], v[162:163]
	v_fma_f64 v[162:163], v[120:121], s[18:19], -v[162:163]
	v_fma_f64 v[232:233], v[120:121], s[22:23], v[164:165]
	;; [unrolled: 2-line block ×3, first 2 shown]
	v_add_f64 v[90:91], v[68:69], v[90:91]
	v_add_f64 v[132:133], v[70:71], v[132:133]
	;; [unrolled: 1-line block ×9, first 2 shown]
	v_mul_f64 v[186:187], v[124:125], s[16:17]
	v_add_f64 v[202:203], v[68:69], v[202:203]
	v_add_f64 v[112:113], v[66:67], v[112:113]
	;; [unrolled: 1-line block ×7, first 2 shown]
	v_mul_f64 v[188:189], v[128:129], s[28:29]
	v_mul_f64 v[128:129], v[128:129], s[36:37]
	v_fma_f64 v[166:167], v[120:121], s[20:21], -v[166:167]
	v_add_f64 v[144:145], v[70:71], v[144:145]
	v_add_f64 v[216:217], v[70:71], v[216:217]
	;; [unrolled: 1-line block ×5, first 2 shown]
	v_mul_f64 v[124:125], v[124:125], s[20:21]
	v_mul_f64 v[190:191], v[94:95], s[18:19]
	;; [unrolled: 1-line block ×3, first 2 shown]
	v_add_f64 v[146:147], v[68:69], v[146:147]
	v_add_f64 v[218:219], v[68:69], v[218:219]
	;; [unrolled: 1-line block ×3, first 2 shown]
	v_fma_f64 v[100:101], v[126:127], s[14:15], v[172:173]
	v_add_f64 v[118:119], v[118:119], v[198:199]
	v_add_f64 v[86:87], v[86:87], v[112:113]
	;; [unrolled: 1-line block ×3, first 2 shown]
	v_fma_f64 v[102:103], v[120:121], s[14:15], v[168:169]
	v_fma_f64 v[112:113], v[120:121], s[14:15], -v[168:169]
	v_fma_f64 v[168:169], v[120:121], s[6:7], v[122:123]
	v_fma_f64 v[120:121], v[120:121], s[6:7], -v[122:123]
	v_fma_f64 v[122:123], v[130:131], s[24:25], v[170:171]
	v_add_f64 v[114:115], v[114:115], v[200:201]
	v_fma_f64 v[109:110], v[130:131], s[30:31], v[170:171]
	v_fma_f64 v[170:171], v[126:127], s[14:15], -v[172:173]
	v_fma_f64 v[172:173], v[130:131], s[46:47], v[174:175]
	v_fma_f64 v[198:199], v[126:127], s[18:19], v[180:181]
	v_fma_f64 v[180:181], v[126:127], s[18:19], -v[180:181]
	v_fma_f64 v[200:201], v[130:131], s[26:27], v[182:183]
	v_add_f64 v[90:91], v[150:151], v[90:91]
	v_fma_f64 v[150:151], v[126:127], s[6:7], v[184:185]
	v_fma_f64 v[182:183], v[130:131], s[8:9], v[182:183]
	v_add_f64 v[132:133], v[160:161], v[132:133]
	v_add_f64 v[134:135], v[152:153], v[134:135]
	;; [unrolled: 1-line block ×7, first 2 shown]
	v_fma_f64 v[84:85], v[126:127], s[22:23], v[176:177]
	v_fma_f64 v[86:87], v[130:131], s[38:39], v[174:175]
	v_fma_f64 v[174:175], v[126:127], s[22:23], -v[176:177]
	v_fma_f64 v[176:177], v[130:131], s[34:35], v[178:179]
	v_fma_f64 v[178:179], v[130:131], s[44:45], v[178:179]
	v_add_f64 v[140:141], v[164:165], v[140:141]
	v_add_f64 v[164:165], v[234:235], v[212:213]
	;; [unrolled: 1-line block ×3, first 2 shown]
	v_mul_f64 v[194:195], v[94:95], s[20:21]
	v_mul_f64 v[196:197], v[96:97], s[40:41]
	v_fma_f64 v[160:161], v[130:131], s[42:43], v[186:187]
	v_add_f64 v[202:203], v[220:221], v[202:203]
	v_add_f64 v[204:205], v[230:231], v[204:205]
	;; [unrolled: 1-line block ×6, first 2 shown]
	v_fma_f64 v[184:185], v[126:127], s[6:7], -v[184:185]
	v_fma_f64 v[220:221], v[126:127], s[16:17], v[188:189]
	v_fma_f64 v[186:187], v[130:131], s[28:29], v[186:187]
	v_add_f64 v[78:79], v[78:79], v[82:83]
	v_add_f64 v[76:77], v[76:77], v[80:81]
	;; [unrolled: 1-line block ×3, first 2 shown]
	v_fma_f64 v[188:189], v[126:127], s[16:17], -v[188:189]
	v_add_f64 v[98:99], v[98:99], v[68:69]
	v_add_f64 v[118:119], v[122:123], v[118:119]
	;; [unrolled: 1-line block ×3, first 2 shown]
	v_mul_f64 v[156:157], v[96:97], s[8:9]
	v_add_f64 v[112:113], v[112:113], v[148:149]
	v_add_f64 v[90:91], v[109:110], v[90:91]
	;; [unrolled: 1-line block ×8, first 2 shown]
	v_fma_f64 v[148:149], v[92:93], s[18:19], -v[192:193]
	v_mul_f64 v[150:151], v[94:95], s[6:7]
	v_mul_f64 v[162:163], v[96:97], s[30:31]
	v_add_f64 v[114:115], v[172:173], v[202:203]
	v_add_f64 v[84:85], v[84:85], v[204:205]
	;; [unrolled: 1-line block ×4, first 2 shown]
	v_fma_f64 v[74:75], v[126:127], s[20:21], v[128:129]
	v_add_f64 v[68:69], v[72:73], v[76:77]
	v_fma_f64 v[72:73], v[130:131], s[40:41], v[124:125]
	v_fma_f64 v[124:125], v[130:131], s[36:37], v[124:125]
	v_fma_f64 v[126:127], v[126:127], s[20:21], -v[128:129]
	v_fma_f64 v[128:129], v[88:89], s[44:45], v[190:191]
	v_fma_f64 v[130:131], v[92:93], s[18:19], v[192:193]
	v_add_f64 v[76:77], v[180:181], v[140:141]
	v_add_f64 v[140:141], v[182:183], v[142:143]
	v_fma_f64 v[142:143], v[88:89], s[34:35], v[190:191]
	v_add_f64 v[78:79], v[200:201], v[154:155]
	v_add_f64 v[82:83], v[160:161], v[82:83]
	v_fma_f64 v[152:153], v[88:89], s[36:37], v[194:195]
	v_fma_f64 v[154:155], v[92:93], s[20:21], v[196:197]
	v_add_f64 v[160:161], v[64:65], v[60:61]
	v_add_f64 v[80:81], v[166:167], v[144:145]
	;; [unrolled: 1-line block ×4, first 2 shown]
	v_add_f64 v[60:61], v[60:61], -v[64:65]
	v_fma_f64 v[158:159], v[88:89], s[40:41], v[194:195]
	v_add_f64 v[109:110], v[148:149], v[109:110]
	v_fma_f64 v[148:149], v[92:93], s[6:7], -v[156:157]
	v_add_f64 v[74:75], v[74:75], v[116:117]
	v_mul_f64 v[116:117], v[94:95], s[14:15]
	v_add_f64 v[112:113], v[188:189], v[112:113]
	v_add_f64 v[98:99], v[124:125], v[98:99]
	;; [unrolled: 1-line block ×5, first 2 shown]
	v_mul_f64 v[124:125], v[94:95], s[22:23]
	v_mul_f64 v[126:127], v[96:97], s[46:47]
	v_fma_f64 v[130:131], v[92:93], s[6:7], v[156:157]
	v_mul_f64 v[94:95], v[94:95], s[16:17]
	v_add_f64 v[90:91], v[142:143], v[90:91]
	v_fma_f64 v[128:129], v[88:89], s[26:27], v[150:151]
	v_fma_f64 v[142:143], v[88:89], s[8:9], v[150:151]
	v_mul_f64 v[96:97], v[96:97], s[42:43]
	v_fma_f64 v[156:157], v[92:93], s[14:15], v[162:163]
	v_add_f64 v[114:115], v[152:153], v[114:115]
	v_add_f64 v[84:85], v[154:155], v[84:85]
	v_add_f64 v[152:153], v[62:63], -v[66:67]
	v_mul_f64 v[154:155], v[160:161], s[20:21]
	v_add_f64 v[72:73], v[72:73], v[146:147]
	v_fma_f64 v[146:147], v[92:93], s[20:21], -v[196:197]
	v_add_f64 v[62:63], v[66:67], v[62:63]
	v_fma_f64 v[150:151], v[88:89], s[24:25], v[116:117]
	v_mul_f64 v[66:67], v[60:61], s[36:37]
	v_fma_f64 v[116:117], v[88:89], s[30:31], v[116:117]
	v_add_f64 v[86:87], v[158:159], v[86:87]
	v_fma_f64 v[158:159], v[92:93], s[14:15], -v[162:163]
	v_add_f64 v[144:145], v[186:187], v[144:145]
	v_fma_f64 v[162:163], v[88:89], s[38:39], v[124:125]
	v_fma_f64 v[164:165], v[92:93], s[22:23], v[126:127]
	;; [unrolled: 1-line block ×3, first 2 shown]
	v_fma_f64 v[126:127], v[92:93], s[22:23], -v[126:127]
	v_add_f64 v[130:131], v[130:131], v[134:135]
	v_fma_f64 v[134:135], v[88:89], s[28:29], v[94:95]
	v_fma_f64 v[88:89], v[88:89], s[42:43], v[94:95]
	v_add_f64 v[128:129], v[128:129], v[132:133]
	v_add_f64 v[132:133], v[142:143], v[136:137]
	v_fma_f64 v[136:137], v[92:93], s[16:17], v[96:97]
	v_fma_f64 v[92:93], v[92:93], s[16:17], -v[96:97]
	v_add_f64 v[96:97], v[156:157], v[138:139]
	v_mul_f64 v[138:139], v[160:161], s[14:15]
	v_add_f64 v[102:103], v[102:103], v[216:217]
	v_fma_f64 v[94:95], v[152:153], s[40:41], v[154:155]
	v_mul_f64 v[142:143], v[60:61], s[24:25]
	v_add_f64 v[122:123], v[146:147], v[122:123]
	v_add_f64 v[76:77], v[148:149], v[76:77]
	;; [unrolled: 1-line block ×3, first 2 shown]
	v_fma_f64 v[146:147], v[62:63], s[20:21], v[66:67]
	v_add_f64 v[116:117], v[116:117], v[140:141]
	v_fma_f64 v[140:141], v[152:153], s[36:37], v[154:155]
	v_mul_f64 v[148:149], v[160:161], s[16:17]
	v_mul_f64 v[150:151], v[60:61], s[28:29]
	v_add_f64 v[80:81], v[184:185], v[80:81]
	v_and_b32_e32 v100, 3, v111
	v_add_f64 v[111:112], v[126:127], v[112:113]
	v_fma_f64 v[66:67], v[62:63], s[20:21], -v[66:67]
	v_mul_f64 v[126:127], v[160:161], s[22:23]
	v_add_f64 v[88:89], v[88:89], v[98:99]
	v_add_f64 v[98:99], v[56:57], v[52:53]
	;; [unrolled: 1-line block ×3, first 2 shown]
	v_mul_f64 v[144:145], v[60:61], s[46:47]
	v_add_f64 v[92:93], v[92:93], v[120:121]
	v_add_f64 v[52:53], v[52:53], -v[56:57]
	v_fma_f64 v[56:57], v[152:153], s[30:31], v[138:139]
	v_mul_f64 v[120:121], v[160:161], s[6:7]
	v_add_f64 v[102:103], v[220:221], v[102:103]
	v_add_f64 v[72:73], v[134:135], v[72:73]
	;; [unrolled: 1-line block ×4, first 2 shown]
	v_fma_f64 v[94:95], v[62:63], s[14:15], v[142:143]
	v_fma_f64 v[134:135], v[152:153], s[24:25], v[138:139]
	v_fma_f64 v[136:137], v[62:63], s[14:15], -v[142:143]
	v_mul_f64 v[138:139], v[60:61], s[8:9]
	v_add_f64 v[118:119], v[146:147], v[118:119]
	v_add_f64 v[90:91], v[140:141], v[90:91]
	v_fma_f64 v[140:141], v[152:153], s[42:43], v[148:149]
	v_fma_f64 v[146:147], v[152:153], s[28:29], v[148:149]
	v_fma_f64 v[148:149], v[62:63], s[16:17], -v[150:151]
	v_add_f64 v[80:81], v[158:159], v[80:81]
	v_fma_f64 v[142:143], v[62:63], s[16:17], v[150:151]
	v_add_f64 v[150:151], v[66:67], v[109:110]
	v_fma_f64 v[66:67], v[152:153], s[38:39], v[126:127]
	v_mul_f64 v[60:61], v[60:61], s[34:35]
	v_add_f64 v[156:157], v[54:55], -v[58:59]
	v_mul_f64 v[158:159], v[98:99], s[22:23]
	v_add_f64 v[82:83], v[162:163], v[82:83]
	v_mul_f64 v[154:155], v[160:161], s[18:19]
	v_add_f64 v[58:59], v[58:59], v[54:55]
	v_add_f64 v[113:114], v[56:57], v[114:115]
	v_fma_f64 v[54:55], v[62:63], s[22:23], -v[144:145]
	v_fma_f64 v[56:57], v[152:153], s[26:27], v[120:121]
	v_add_f64 v[102:103], v[164:165], v[102:103]
	v_fma_f64 v[126:127], v[152:153], s[46:47], v[126:127]
	v_mul_f64 v[160:161], v[52:53], s[38:39]
	v_add_f64 v[84:85], v[94:95], v[84:85]
	v_add_f64 v[94:95], v[136:137], v[122:123]
	v_fma_f64 v[122:123], v[62:63], s[6:7], v[138:139]
	v_fma_f64 v[120:121], v[152:153], s[8:9], v[120:121]
	v_add_f64 v[86:87], v[134:135], v[86:87]
	v_add_f64 v[134:135], v[148:149], v[76:77]
	v_fma_f64 v[76:77], v[62:63], s[6:7], -v[138:139]
	v_fma_f64 v[109:110], v[62:63], s[22:23], v[144:145]
	v_add_f64 v[128:129], v[140:141], v[128:129]
	v_add_f64 v[136:137], v[66:67], v[78:79]
	v_fma_f64 v[78:79], v[62:63], s[18:19], v[60:61]
	v_fma_f64 v[60:61], v[62:63], s[18:19], -v[60:61]
	v_fma_f64 v[62:63], v[156:157], s[46:47], v[158:159]
	v_mul_f64 v[138:139], v[98:99], s[6:7]
	v_mul_f64 v[140:141], v[52:53], s[8:9]
	v_add_f64 v[130:131], v[142:143], v[130:131]
	v_fma_f64 v[66:67], v[152:153], s[44:45], v[154:155]
	v_add_f64 v[142:143], v[54:55], v[80:81]
	v_add_f64 v[144:145], v[56:57], v[82:83]
	v_mul_f64 v[56:57], v[98:99], s[20:21]
	v_mul_f64 v[80:81], v[52:53], s[36:37]
	v_add_f64 v[115:116], v[126:127], v[116:117]
	v_fma_f64 v[126:127], v[58:59], s[22:23], v[160:161]
	v_mul_f64 v[82:83], v[98:99], s[16:17]
	v_add_f64 v[102:103], v[122:123], v[102:103]
	v_mul_f64 v[122:123], v[52:53], s[42:43]
	v_add_f64 v[132:133], v[146:147], v[132:133]
	v_add_f64 v[120:121], v[120:121], v[124:125]
	v_mul_f64 v[124:125], v[98:99], s[18:19]
	v_mul_f64 v[146:147], v[52:53], s[34:35]
	v_add_f64 v[111:112], v[76:77], v[111:112]
	v_mul_f64 v[76:77], v[98:99], s[14:15]
	v_mul_f64 v[98:99], v[52:53], s[24:25]
	v_add_f64 v[96:97], v[109:110], v[96:97]
	v_fma_f64 v[109:110], v[152:153], s[34:35], v[154:155]
	v_add_f64 v[154:155], v[60:61], v[92:93]
	v_add_f64 v[52:53], v[62:63], v[64:65]
	v_fma_f64 v[60:61], v[156:157], s[38:39], v[158:159]
	v_fma_f64 v[62:63], v[156:157], s[26:27], v[138:139]
	;; [unrolled: 1-line block ×3, first 2 shown]
	v_add_f64 v[148:149], v[66:67], v[72:73]
	v_add_f64 v[152:153], v[78:79], v[74:75]
	v_fma_f64 v[66:67], v[156:157], s[8:9], v[138:139]
	v_fma_f64 v[72:73], v[58:59], s[6:7], -v[140:141]
	v_fma_f64 v[74:75], v[156:157], s[40:41], v[56:57]
	v_fma_f64 v[78:79], v[58:59], s[20:21], v[80:81]
	v_add_f64 v[54:55], v[126:127], v[118:119]
	v_fma_f64 v[80:81], v[58:59], s[20:21], -v[80:81]
	v_fma_f64 v[92:93], v[156:157], s[28:29], v[82:83]
	v_fma_f64 v[117:118], v[58:59], s[16:17], v[122:123]
	;; [unrolled: 1-line block ×8, first 2 shown]
	v_add_f64 v[109:110], v[109:110], v[88:89]
	v_fma_f64 v[98:99], v[58:59], s[14:15], -v[98:99]
	v_fma_f64 v[88:89], v[156:157], s[36:37], v[56:57]
	v_fma_f64 v[146:147], v[58:59], s[18:19], -v[146:147]
	v_fma_f64 v[156:157], v[156:157], s[42:43], v[82:83]
	v_fma_f64 v[122:123], v[58:59], s[16:17], -v[122:123]
	v_fma_f64 v[58:59], v[58:59], s[22:23], -v[160:161]
	v_add_f64 v[56:57], v[60:61], v[90:91]
	v_add_f64 v[60:61], v[62:63], v[113:114]
	;; [unrolled: 1-line block ×14, first 2 shown]
	v_mul_u32_u24_e32 v101, 0xb6, v100
	v_add_f64 v[96:97], v[162:163], v[109:110]
	v_add_f64 v[98:99], v[98:99], v[154:155]
	;; [unrolled: 1-line block ×7, first 2 shown]
	v_mul_u32_u24_e32 v102, 0xd0, v108
	v_lshlrev_b32_e32 v100, 4, v101
	v_add_f64 v[58:59], v[58:59], v[150:151]
	s_mov_b32 s1, exec_lo
	v_add3_u32 v102, 0, v102, v100
	ds_write_b128 v102, v[68:71]
	ds_write_b128 v102, v[52:55] offset:16
	ds_write_b128 v102, v[60:63] offset:32
	;; [unrolled: 1-line block ×12, first 2 shown]
	v_cmpx_eq_u32_e32 0, v108
	s_cbranch_execz .LBB0_17
; %bb.16:
	v_add_f64 v[86:87], v[48:49], -v[4:5]
	v_add_f64 v[98:99], v[50:51], -v[6:7]
	;; [unrolled: 1-line block ×4, first 2 shown]
	v_add_f64 v[92:93], v[6:7], v[50:51]
	v_add_f64 v[90:91], v[4:5], v[48:49]
	v_add_f64 v[84:85], v[28:29], -v[12:13]
	v_add_f64 v[88:89], v[30:31], -v[14:15]
	v_add_f64 v[80:81], v[10:11], v[46:47]
	v_add_f64 v[82:83], v[8:9], v[44:45]
	v_add_f64 v[74:75], v[20:21], -v[16:17]
	v_add_f64 v[72:73], v[14:15], v[30:31]
	v_add_f64 v[78:79], v[22:23], -v[18:19]
	v_add_f64 v[76:77], v[12:13], v[28:29]
	v_add_f64 v[50:51], v[50:51], v[2:3]
	v_add_f64 v[66:67], v[40:41], -v[24:25]
	v_add_f64 v[64:65], v[18:19], v[22:23]
	;; [unrolled: 5-line block ×3, first 2 shown]
	v_mul_f64 v[102:103], v[86:87], s[38:39]
	v_mul_f64 v[109:110], v[98:99], s[38:39]
	;; [unrolled: 1-line block ×14, first 2 shown]
	v_add_f64 v[62:63], v[38:39], -v[34:35]
	v_add_f64 v[60:61], v[24:25], v[40:41]
	v_mul_f64 v[113:114], v[66:67], s[34:35]
	v_mul_f64 v[123:124], v[70:71], s[34:35]
	v_mul_f64 v[173:174], v[94:95], s[40:41]
	v_mul_f64 v[143:144], v[74:75], s[46:47]
	v_mul_f64 v[155:156], v[88:89], s[28:29]
	v_mul_f64 v[183:184], v[98:99], s[34:35]
	v_fma_f64 v[137:138], v[92:93], s[22:23], -v[102:103]
	v_fma_f64 v[139:140], v[90:91], s[22:23], v[109:110]
	v_fma_f64 v[109:110], v[90:91], s[22:23], -v[109:110]
	v_fma_f64 v[102:103], v[92:93], s[22:23], v[102:103]
	;; [unrolled: 2-line block ×7, first 2 shown]
	v_fma_f64 v[117:118], v[72:73], s[20:21], v[117:118]
	v_fma_f64 v[193:194], v[80:81], s[14:15], -v[147:148]
	v_fma_f64 v[147:148], v[80:81], s[14:15], v[147:148]
	v_fma_f64 v[201:202], v[92:93], s[18:19], -v[175:176]
	;; [unrolled: 2-line block ×4, first 2 shown]
	v_add_f64 v[137:138], v[2:3], v[137:138]
	v_add_f64 v[139:140], v[0:1], v[139:140]
	v_add_f64 v[109:110], v[0:1], v[109:110]
	v_add_f64 v[102:103], v[2:3], v[102:103]
	v_add_f64 v[52:53], v[34:35], v[38:39]
	v_add_f64 v[54:55], v[32:33], v[36:37]
	v_mul_f64 v[111:112], v[58:59], s[24:25]
	v_mul_f64 v[121:122], v[62:63], s[24:25]
	v_add_f64 v[169:170], v[2:3], v[169:170]
	v_mul_f64 v[163:164], v[84:85], s[8:9]
	v_mul_f64 v[141:142], v[66:67], s[8:9]
	;; [unrolled: 1-line block ×4, first 2 shown]
	v_add_f64 v[171:172], v[0:1], v[171:172]
	v_mul_f64 v[187:188], v[94:95], s[38:39]
	v_fma_f64 v[199:200], v[76:77], s[16:17], v[155:156]
	v_fma_f64 v[175:176], v[92:93], s[18:19], v[175:176]
	v_add_f64 v[201:202], v[2:3], v[201:202]
	v_mul_f64 v[161:162], v[74:75], s[30:31]
	v_mul_f64 v[179:180], v[88:89], s[8:9]
	;; [unrolled: 1-line block ×4, first 2 shown]
	v_add_f64 v[137:138], v[165:166], v[137:138]
	v_add_f64 v[139:140], v[167:168], v[139:140]
	v_add_f64 v[109:110], v[127:128], v[109:110]
	v_add_f64 v[102:103], v[119:120], v[102:103]
	v_add_f64 v[119:120], v[2:3], v[133:134]
	v_add_f64 v[167:168], v[46:47], v[50:51]
	v_fma_f64 v[46:47], v[90:91], s[20:21], -v[135:136]
	v_add_f64 v[135:136], v[44:45], v[48:49]
	v_fma_f64 v[48:49], v[64:65], s[16:17], -v[115:116]
	v_fma_f64 v[50:51], v[68:69], s[16:17], v[125:126]
	v_fma_f64 v[125:126], v[68:69], s[16:17], -v[125:126]
	v_mul_f64 v[127:128], v[86:87], s[30:31]
	v_fma_f64 v[115:116], v[64:65], s[16:17], v[115:116]
	v_add_f64 v[169:170], v[193:194], v[169:170]
	v_fma_f64 v[193:194], v[80:81], s[20:21], -v[173:174]
	v_add_f64 v[171:172], v[195:196], v[171:172]
	v_fma_f64 v[195:196], v[90:91], s[18:19], v[183:184]
	v_fma_f64 v[44:45], v[52:53], s[14:15], -v[111:112]
	v_fma_f64 v[111:112], v[52:53], s[14:15], v[111:112]
	v_fma_f64 v[173:174], v[80:81], s[20:21], v[173:174]
	v_add_f64 v[175:176], v[2:3], v[175:176]
	v_mul_f64 v[165:166], v[98:99], s[30:31]
	v_add_f64 v[137:138], v[189:190], v[137:138]
	v_add_f64 v[139:140], v[191:192], v[139:140]
	;; [unrolled: 1-line block ×5, first 2 shown]
	v_fma_f64 v[119:120], v[56:57], s[18:19], -v[113:114]
	v_add_f64 v[46:47], v[0:1], v[46:47]
	v_fma_f64 v[147:148], v[60:61], s[18:19], v[123:124]
	v_fma_f64 v[123:124], v[60:61], s[18:19], -v[123:124]
	v_fma_f64 v[113:114], v[56:57], s[18:19], v[113:114]
	v_fma_f64 v[189:190], v[64:65], s[22:23], -v[143:144]
	v_fma_f64 v[143:144], v[64:65], s[22:23], v[143:144]
	v_fma_f64 v[129:130], v[54:55], s[14:15], v[121:122]
	;; [unrolled: 1-line block ×3, first 2 shown]
	v_add_f64 v[193:194], v[193:194], v[201:202]
	v_mul_f64 v[151:152], v[70:71], s[8:9]
	v_add_f64 v[195:196], v[0:1], v[195:196]
	v_mul_f64 v[177:178], v[78:79], s[30:31]
	v_add_f64 v[30:31], v[30:31], v[167:168]
	v_add_f64 v[28:29], v[28:29], v[135:136]
	;; [unrolled: 1-line block ×3, first 2 shown]
	v_mul_f64 v[133:134], v[96:97], s[38:39]
	v_add_f64 v[48:49], v[48:49], v[137:138]
	v_add_f64 v[50:51], v[50:51], v[139:140]
	;; [unrolled: 1-line block ×5, first 2 shown]
	v_fma_f64 v[125:126], v[90:91], s[18:19], -v[183:184]
	v_fma_f64 v[137:138], v[76:77], s[16:17], -v[155:156]
	v_add_f64 v[46:47], v[157:158], v[46:47]
	v_fma_f64 v[155:156], v[92:93], s[14:15], -v[127:128]
	v_fma_f64 v[117:118], v[54:55], s[14:15], -v[121:122]
	;; [unrolled: 1-line block ×4, first 2 shown]
	v_fma_f64 v[141:142], v[56:57], s[6:7], v[141:142]
	v_fma_f64 v[183:184], v[82:83], s[20:21], v[181:182]
	;; [unrolled: 1-line block ×3, first 2 shown]
	v_add_f64 v[169:170], v[197:198], v[169:170]
	v_add_f64 v[171:172], v[199:200], v[171:172]
	v_mul_f64 v[159:160], v[66:67], s[46:47]
	v_add_f64 v[22:23], v[22:23], v[30:31]
	v_add_f64 v[20:21], v[20:21], v[28:29]
	v_fma_f64 v[145:146], v[60:61], s[6:7], v[151:152]
	v_fma_f64 v[30:31], v[72:73], s[18:19], v[185:186]
	v_add_f64 v[48:49], v[119:120], v[48:49]
	v_add_f64 v[50:51], v[147:148], v[50:51]
	;; [unrolled: 1-line block ×5, first 2 shown]
	v_fma_f64 v[119:120], v[82:83], s[20:21], -v[181:182]
	v_add_f64 v[123:124], v[0:1], v[125:126]
	v_fma_f64 v[125:126], v[68:69], s[22:23], -v[153:154]
	v_add_f64 v[137:138], v[137:138], v[46:47]
	;; [unrolled: 2-line block ×4, first 2 shown]
	v_fma_f64 v[155:156], v[76:77], s[6:7], v[179:180]
	v_add_f64 v[183:184], v[183:184], v[195:196]
	v_fma_f64 v[181:182], v[90:91], s[14:15], v[165:166]
	v_fma_f64 v[115:116], v[54:55], s[18:19], v[149:150]
	v_add_f64 v[135:136], v[163:164], v[173:174]
	v_add_f64 v[169:170], v[189:190], v[169:170]
	;; [unrolled: 1-line block ×3, first 2 shown]
	v_fma_f64 v[163:164], v[68:69], s[14:15], -v[177:178]
	v_add_f64 v[22:23], v[42:43], v[22:23]
	v_add_f64 v[46:47], v[44:45], v[48:49]
	;; [unrolled: 1-line block ×4, first 2 shown]
	v_fma_f64 v[109:110], v[92:93], s[14:15], v[127:128]
	v_add_f64 v[50:51], v[111:112], v[102:103]
	v_add_f64 v[102:103], v[141:142], v[113:114]
	v_fma_f64 v[111:112], v[76:77], s[6:7], -v[179:180]
	v_add_f64 v[113:114], v[119:120], v[123:124]
	v_add_f64 v[119:120], v[125:126], v[137:138]
	v_mul_f64 v[123:124], v[74:75], s[8:9]
	v_fma_f64 v[125:126], v[72:73], s[18:19], -v[185:186]
	v_add_f64 v[127:128], v[143:144], v[147:148]
	v_add_f64 v[153:154], v[153:154], v[157:158]
	v_fma_f64 v[157:158], v[64:65], s[14:15], v[161:162]
	v_fma_f64 v[161:162], v[80:81], s[22:23], v[187:188]
	v_fma_f64 v[117:118], v[60:61], s[6:7], -v[151:152]
	v_mul_f64 v[137:138], v[70:71], s[46:47]
	v_fma_f64 v[141:142], v[68:69], s[14:15], v[177:178]
	v_add_f64 v[155:156], v[155:156], v[183:184]
	v_mul_f64 v[143:144], v[88:89], s[44:45]
	v_fma_f64 v[147:148], v[82:83], s[22:23], v[133:134]
	v_add_f64 v[151:152], v[0:1], v[181:182]
	v_fma_f64 v[133:134], v[82:83], s[22:23], -v[133:134]
	v_add_f64 v[20:21], v[40:41], v[20:21]
	v_mul_f64 v[40:41], v[98:99], s[26:27]
	v_add_f64 v[109:110], v[2:3], v[109:110]
	v_add_f64 v[139:140], v[139:140], v[169:170]
	;; [unrolled: 1-line block ×3, first 2 shown]
	v_fma_f64 v[169:170], v[56:57], s[22:23], -v[159:160]
	v_add_f64 v[111:112], v[111:112], v[113:114]
	v_fma_f64 v[113:114], v[54:55], s[18:19], -v[149:150]
	v_fma_f64 v[149:150], v[90:91], s[14:15], -v[165:166]
	v_mul_f64 v[165:166], v[66:67], s[28:29]
	v_fma_f64 v[167:168], v[64:65], s[6:7], -v[123:124]
	v_add_f64 v[125:126], v[125:126], v[127:128]
	v_add_f64 v[28:29], v[157:158], v[135:136]
	v_mul_f64 v[171:172], v[78:79], s[8:9]
	v_add_f64 v[117:118], v[117:118], v[119:120]
	v_mul_f64 v[119:120], v[62:63], s[42:43]
	v_fma_f64 v[127:128], v[60:61], s[22:23], v[137:138]
	v_add_f64 v[141:142], v[141:142], v[155:156]
	v_fma_f64 v[135:136], v[60:61], s[22:23], -v[137:138]
	v_fma_f64 v[155:156], v[56:57], s[22:23], v[159:160]
	v_fma_f64 v[173:174], v[76:77], s[18:19], v[143:144]
	v_add_f64 v[147:148], v[147:148], v[151:152]
	v_mul_f64 v[42:43], v[98:99], s[28:29]
	v_fma_f64 v[123:124], v[64:65], s[6:7], v[123:124]
	v_add_f64 v[109:110], v[161:162], v[109:110]
	v_mul_f64 v[161:162], v[70:71], s[28:29]
	v_add_f64 v[22:23], v[38:39], v[22:23]
	v_add_f64 v[20:21], v[36:37], v[20:21]
	;; [unrolled: 1-line block ×3, first 2 shown]
	v_fma_f64 v[36:37], v[90:91], s[6:7], -v[40:41]
	v_add_f64 v[137:138], v[0:1], v[149:150]
	v_fma_f64 v[157:158], v[56:57], s[16:17], -v[165:166]
	v_add_f64 v[153:154], v[169:170], v[153:154]
	v_add_f64 v[125:126], v[167:168], v[125:126]
	v_mul_f64 v[167:168], v[86:87], s[28:29]
	v_mul_f64 v[86:87], v[86:87], s[26:27]
	v_fma_f64 v[169:170], v[68:69], s[6:7], v[171:172]
	v_fma_f64 v[163:164], v[54:55], s[16:17], v[119:120]
	v_fma_f64 v[98:99], v[54:55], s[16:17], -v[119:120]
	v_add_f64 v[127:128], v[127:128], v[141:142]
	v_mul_f64 v[141:142], v[94:95], s[34:35]
	v_mul_f64 v[94:95], v[94:95], s[28:29]
	v_add_f64 v[28:29], v[155:156], v[28:29]
	v_mul_f64 v[155:156], v[96:97], s[34:35]
	v_mul_f64 v[96:97], v[96:97], s[28:29]
	v_add_f64 v[147:148], v[173:174], v[147:148]
	v_add_f64 v[30:31], v[30:31], v[109:110]
	v_fma_f64 v[109:110], v[76:77], s[18:19], -v[143:144]
	v_fma_f64 v[38:39], v[90:91], s[16:17], -v[42:43]
	v_fma_f64 v[42:43], v[90:91], s[16:17], v[42:43]
	v_fma_f64 v[40:41], v[90:91], s[6:7], v[40:41]
	v_add_f64 v[22:23], v[34:35], v[22:23]
	v_add_f64 v[119:120], v[133:134], v[137:138]
	v_fma_f64 v[137:138], v[60:61], s[16:17], v[161:162]
	v_add_f64 v[20:21], v[32:33], v[20:21]
	v_add_f64 v[125:126], v[157:158], v[125:126]
	v_fma_f64 v[143:144], v[92:93], s[16:17], v[167:168]
	v_fma_f64 v[157:158], v[56:57], s[16:17], v[165:166]
	;; [unrolled: 1-line block ×3, first 2 shown]
	v_fma_f64 v[86:87], v[92:93], s[6:7], -v[86:87]
	v_add_f64 v[32:33], v[0:1], v[36:37]
	v_mul_f64 v[36:37], v[74:75], s[40:41]
	v_fma_f64 v[90:91], v[80:81], s[18:19], v[141:142]
	v_mul_f64 v[74:75], v[74:75], s[34:35]
	v_mul_f64 v[131:132], v[58:59], s[34:35]
	;; [unrolled: 1-line block ×3, first 2 shown]
	v_fma_f64 v[173:174], v[82:83], s[16:17], -v[96:97]
	v_add_f64 v[147:148], v[169:170], v[147:148]
	v_add_f64 v[30:31], v[123:124], v[30:31]
	v_fma_f64 v[123:124], v[60:61], s[16:17], -v[161:162]
	v_fma_f64 v[161:162], v[92:93], s[16:17], -v[167:168]
	v_fma_f64 v[167:168], v[68:69], s[6:7], -v[171:172]
	v_fma_f64 v[171:172], v[80:81], s[16:17], v[94:95]
	v_mul_f64 v[92:93], v[88:89], s[38:39]
	v_add_f64 v[109:110], v[109:110], v[119:120]
	v_mul_f64 v[119:120], v[84:85], s[38:39]
	v_mul_f64 v[84:85], v[84:85], s[30:31]
	;; [unrolled: 1-line block ×3, first 2 shown]
	v_add_f64 v[143:144], v[2:3], v[143:144]
	v_fma_f64 v[169:170], v[82:83], s[18:19], -v[155:156]
	v_add_f64 v[165:166], v[2:3], v[165:166]
	v_add_f64 v[34:35], v[0:1], v[38:39]
	v_fma_f64 v[38:39], v[80:81], s[18:19], -v[141:142]
	v_fma_f64 v[155:156], v[82:83], s[18:19], v[155:156]
	v_add_f64 v[42:43], v[0:1], v[42:43]
	v_fma_f64 v[80:81], v[80:81], s[16:17], -v[94:95]
	v_fma_f64 v[82:83], v[82:83], s[16:17], v[96:97]
	v_add_f64 v[0:1], v[0:1], v[40:41]
	v_add_f64 v[22:23], v[26:27], v[22:23]
	;; [unrolled: 1-line block ×4, first 2 shown]
	v_mul_f64 v[32:33], v[66:67], s[24:25]
	v_add_f64 v[141:142], v[2:3], v[161:162]
	v_add_f64 v[2:3], v[2:3], v[86:87]
	v_mul_f64 v[161:162], v[78:79], s[40:41]
	v_mul_f64 v[78:79], v[78:79], s[34:35]
	;; [unrolled: 1-line block ×3, first 2 shown]
	v_fma_f64 v[40:41], v[72:73], s[22:23], v[119:120]
	v_fma_f64 v[94:95], v[72:73], s[14:15], v[84:85]
	v_mul_f64 v[149:150], v[58:59], s[36:37]
	v_add_f64 v[86:87], v[90:91], v[143:144]
	v_fma_f64 v[143:144], v[76:77], s[14:15], -v[88:89]
	v_add_f64 v[96:97], v[171:172], v[165:166]
	v_fma_f64 v[90:91], v[76:77], s[22:23], -v[92:93]
	;; [unrolled: 2-line block ×3, first 2 shown]
	v_fma_f64 v[92:93], v[76:77], s[22:23], v[92:93]
	v_add_f64 v[42:43], v[155:156], v[42:43]
	v_fma_f64 v[72:73], v[72:73], s[14:15], -v[84:85]
	v_fma_f64 v[76:77], v[76:77], s[14:15], v[88:89]
	v_add_f64 v[0:1], v[82:83], v[0:1]
	v_fma_f64 v[84:85], v[64:65], s[18:19], v[74:75]
	v_add_f64 v[18:19], v[18:19], v[22:23]
	v_add_f64 v[16:17], v[16:17], v[20:21]
	;; [unrolled: 1-line block ×4, first 2 shown]
	v_mul_f64 v[119:120], v[70:71], s[24:25]
	v_fma_f64 v[80:81], v[64:65], s[20:21], v[36:37]
	v_mul_f64 v[70:71], v[70:71], s[36:37]
	v_fma_f64 v[88:89], v[68:69], s[18:19], -v[78:79]
	v_fma_f64 v[82:83], v[68:69], s[20:21], -v[161:162]
	v_mul_f64 v[159:160], v[62:63], s[36:37]
	v_add_f64 v[40:41], v[40:41], v[86:87]
	v_add_f64 v[20:21], v[143:144], v[24:25]
	;; [unrolled: 1-line block ×3, first 2 shown]
	v_mul_f64 v[24:25], v[58:59], s[8:9]
	v_add_f64 v[22:23], v[90:91], v[26:27]
	v_fma_f64 v[26:27], v[64:65], s[20:21], -v[36:37]
	v_fma_f64 v[64:65], v[64:65], s[18:19], -v[74:75]
	v_add_f64 v[42:43], v[92:93], v[42:43]
	v_mul_f64 v[36:37], v[62:63], s[8:9]
	v_mul_f64 v[58:59], v[58:59], s[38:39]
	v_add_f64 v[0:1], v[76:77], v[0:1]
	v_fma_f64 v[76:77], v[56:57], s[20:21], v[66:67]
	v_add_f64 v[14:15], v[14:15], v[18:19]
	v_add_f64 v[12:13], v[12:13], v[16:17]
	;; [unrolled: 1-line block ×3, first 2 shown]
	v_fma_f64 v[38:39], v[68:69], s[20:21], v[161:162]
	v_add_f64 v[2:3], v[72:73], v[2:3]
	v_fma_f64 v[68:69], v[68:69], s[18:19], v[78:79]
	v_fma_f64 v[72:73], v[56:57], s[14:15], v[32:33]
	v_mul_f64 v[62:63], v[62:63], s[38:39]
	v_fma_f64 v[74:75], v[60:61], s[14:15], -v[119:120]
	v_fma_f64 v[32:33], v[56:57], s[14:15], -v[32:33]
	v_add_f64 v[40:41], v[80:81], v[40:41]
	v_fma_f64 v[80:81], v[60:61], s[20:21], -v[70:71]
	v_add_f64 v[78:79], v[84:85], v[86:87]
	v_add_f64 v[16:17], v[88:89], v[20:21]
	;; [unrolled: 1-line block ×4, first 2 shown]
	v_fma_f64 v[22:23], v[52:53], s[20:21], v[149:150]
	v_add_f64 v[30:31], v[157:158], v[30:31]
	v_fma_f64 v[151:152], v[52:53], s[16:17], -v[129:130]
	v_fma_f64 v[129:130], v[52:53], s[16:17], v[129:130]
	v_add_f64 v[111:112], v[135:136], v[111:112]
	v_fma_f64 v[121:122], v[52:53], s[18:19], -v[131:132]
	v_fma_f64 v[131:132], v[52:53], s[18:19], v[131:132]
	v_add_f64 v[12:13], v[8:9], v[12:13]
	v_add_f64 v[26:27], v[26:27], v[34:35]
	v_fma_f64 v[34:35], v[60:61], s[14:15], v[119:120]
	v_add_f64 v[38:39], v[38:39], v[42:43]
	v_fma_f64 v[42:43], v[56:57], s[20:21], -v[66:67]
	v_add_f64 v[2:3], v[64:65], v[2:3]
	v_fma_f64 v[56:57], v[60:61], s[20:21], v[70:71]
	v_add_f64 v[0:1], v[68:69], v[0:1]
	v_fma_f64 v[68:69], v[52:53], s[22:23], v[58:59]
	v_add_f64 v[40:41], v[72:73], v[40:41]
	v_fma_f64 v[72:73], v[54:55], s[22:23], -v[62:63]
	v_add_f64 v[70:71], v[76:77], v[78:79]
	v_add_f64 v[76:77], v[10:11], v[14:15]
	;; [unrolled: 1-line block ×3, first 2 shown]
	v_fma_f64 v[64:65], v[52:53], s[6:7], v[24:25]
	v_fma_f64 v[66:67], v[54:55], s[6:7], -v[36:37]
	v_add_f64 v[74:75], v[74:75], v[18:19]
	v_fma_f64 v[60:61], v[54:55], s[20:21], -v[159:160]
	v_add_f64 v[78:79], v[123:124], v[20:21]
	v_fma_f64 v[133:134], v[52:53], s[20:21], -v[149:150]
	v_fma_f64 v[135:136], v[54:55], s[20:21], v[159:160]
	v_add_f64 v[80:81], v[137:138], v[147:148]
	v_fma_f64 v[82:83], v[52:53], s[6:7], -v[24:25]
	v_add_f64 v[84:85], v[32:33], v[26:27]
	v_fma_f64 v[36:37], v[54:55], s[6:7], v[36:37]
	v_add_f64 v[86:87], v[34:35], v[38:39]
	v_fma_f64 v[52:53], v[52:53], s[22:23], -v[58:59]
	v_add_f64 v[42:43], v[42:43], v[2:3]
	v_fma_f64 v[54:55], v[54:55], s[22:23], v[62:63]
	v_add_f64 v[56:57], v[56:57], v[0:1]
	v_add_f64 v[4:5], v[4:5], v[12:13]
	;; [unrolled: 1-line block ×23, first 2 shown]
	v_lshl_add_u32 v52, v101, 4, 0
	ds_write_b128 v52, v[4:7] offset:2704
	ds_write_b128 v52, v[24:27] offset:2720
	ds_write_b128 v52, v[20:23] offset:2736
	ds_write_b128 v52, v[16:19] offset:2752
	ds_write_b128 v52, v[12:15] offset:2768
	ds_write_b128 v52, v[8:11] offset:2784
	ds_write_b128 v52, v[48:51] offset:2800
	ds_write_b128 v52, v[44:47] offset:2816
	ds_write_b128 v52, v[0:3] offset:2832
	ds_write_b128 v52, v[28:31] offset:2848
	ds_write_b128 v52, v[32:35] offset:2864
	ds_write_b128 v52, v[36:39] offset:2880
	ds_write_b128 v52, v[40:43] offset:2896
.LBB0_17:
	s_or_b32 exec_lo, exec_lo, s1
	v_add_nc_u16 v2, v108, 26
	v_add_nc_u16 v3, v108, 39
	;; [unrolled: 1-line block ×5, first 2 shown]
	v_and_b32_e32 v0, 0xff, v2
	v_and_b32_e32 v8, 0xff, v3
	;; [unrolled: 1-line block ×3, first 2 shown]
	v_mov_b32_e32 v109, 0
	v_and_b32_e32 v10, 0xff, v5
	v_mul_lo_u16 v7, 0x4f, v0
	v_and_b32_e32 v11, 0xff, v6
	v_mul_lo_u16 v8, 0x4f, v8
	v_mul_lo_u16 v9, 0x4f, v9
	v_lshlrev_b64 v[0:1], 4, v[108:109]
	v_lshrrev_b16 v7, 10, v7
	v_mul_lo_u16 v10, 0x4f, v10
	v_mov_b32_e32 v12, 4
	v_lshrrev_b16 v9, 10, v9
	s_waitcnt lgkmcnt(0)
	v_mul_lo_u16 v7, v7, 13
	v_lshrrev_b16 v10, 10, v10
	v_add_co_u32 v0, s0, s12, v0
	v_add_co_ci_u32_e64 v1, s0, s13, v1, s0
	v_sub_nc_u16 v2, v2, v7
	v_lshrrev_b16 v7, 10, v8
	v_mul_lo_u16 v8, 0x4f, v11
	v_mul_lo_u16 v9, v9, 13
	;; [unrolled: 1-line block ×3, first 2 shown]
	s_barrier
	v_mul_lo_u16 v7, v7, 13
	v_lshrrev_b16 v8, 10, v8
	buffer_gl0_inv
	v_lshlrev_b32_sdwa v98, v12, v2 dst_sel:DWORD dst_unused:UNUSED_PAD src0_sel:DWORD src1_sel:BYTE_0
	v_sub_nc_u16 v4, v4, v9
	v_sub_nc_u16 v7, v3, v7
	v_mul_lo_u16 v8, v8, 13
	global_load_dwordx4 v[0:3], v[0:1], off
	v_sub_nc_u16 v9, v5, v10
	v_lshlrev_b32_sdwa v101, v12, v4 dst_sel:DWORD dst_unused:UNUSED_PAD src0_sel:DWORD src1_sel:BYTE_0
	v_lshlrev_b32_sdwa v99, v12, v7 dst_sel:DWORD dst_unused:UNUSED_PAD src0_sel:DWORD src1_sel:BYTE_0
	v_sub_nc_u16 v13, v6, v8
	global_load_dwordx4 v[4:7], v98, s[12:13]
	v_lshlrev_b32_sdwa v102, v12, v9 dst_sel:DWORD dst_unused:UNUSED_PAD src0_sel:DWORD src1_sel:BYTE_0
	v_lshlrev_b32_e32 v52, 4, v108
	global_load_dwordx4 v[8:11], v99, s[12:13]
	v_lshlrev_b32_sdwa v103, v12, v13 dst_sel:DWORD dst_unused:UNUSED_PAD src0_sel:DWORD src1_sel:BYTE_0
	s_clause 0x2
	global_load_dwordx4 v[12:15], v101, s[12:13]
	global_load_dwordx4 v[16:19], v102, s[12:13]
	;; [unrolled: 1-line block ×3, first 2 shown]
	v_add3_u32 v72, 0, v52, v100
	ds_read_b128 v[24:27], v72 offset:1456
	ds_read_b128 v[28:31], v72 offset:1664
	;; [unrolled: 1-line block ×7, first 2 shown]
	v_add_nc_u32_e32 v100, 0, v100
	v_add_nc_u32_e32 v73, v100, v52
	ds_read_b128 v[52:55], v72 offset:1248
	ds_read_b128 v[56:59], v73
	ds_read_b128 v[60:63], v72 offset:208
	ds_read_b128 v[64:67], v72 offset:416
	;; [unrolled: 1-line block ×5, first 2 shown]
	s_waitcnt vmcnt(0) lgkmcnt(0)
	s_barrier
	buffer_gl0_inv
	v_mul_f64 v[82:83], v[26:27], v[2:3]
	v_mul_f64 v[84:85], v[24:25], v[2:3]
	;; [unrolled: 1-line block ×14, first 2 shown]
	v_fma_f64 v[24:25], v[24:25], v[0:1], -v[82:83]
	v_fma_f64 v[26:27], v[26:27], v[0:1], v[84:85]
	v_fma_f64 v[28:29], v[28:29], v[0:1], -v[86:87]
	v_fma_f64 v[30:31], v[30:31], v[0:1], v[2:3]
	;; [unrolled: 2-line block ×7, first 2 shown]
	v_add_f64 v[0:1], v[56:57], -v[24:25]
	v_add_f64 v[2:3], v[58:59], -v[26:27]
	;; [unrolled: 1-line block ×14, first 2 shown]
	v_fma_f64 v[28:29], v[56:57], 2.0, -v[0:1]
	v_fma_f64 v[30:31], v[58:59], 2.0, -v[2:3]
	v_fma_f64 v[32:33], v[60:61], 2.0, -v[4:5]
	v_fma_f64 v[34:35], v[62:63], 2.0, -v[6:7]
	v_add_nc_u32_e32 v56, v100, v98
	v_fma_f64 v[36:37], v[64:65], 2.0, -v[8:9]
	v_fma_f64 v[38:39], v[66:67], 2.0, -v[10:11]
	v_add_nc_u32_e32 v57, v100, v99
	v_fma_f64 v[40:41], v[68:69], 2.0, -v[12:13]
	v_fma_f64 v[42:43], v[70:71], 2.0, -v[14:15]
	v_fma_f64 v[44:45], v[74:75], 2.0, -v[16:17]
	v_fma_f64 v[46:47], v[76:77], 2.0, -v[18:19]
	v_fma_f64 v[48:49], v[78:79], 2.0, -v[20:21]
	v_fma_f64 v[50:51], v[80:81], 2.0, -v[22:23]
	v_fma_f64 v[52:53], v[52:53], 2.0, -v[24:25]
	v_fma_f64 v[54:55], v[54:55], 2.0, -v[26:27]
	v_add_nc_u32_e32 v58, v100, v101
	v_add_nc_u32_e32 v59, v100, v102
	;; [unrolled: 1-line block ×3, first 2 shown]
	ds_write_b128 v72, v[0:3] offset:208
	ds_write_b128 v72, v[4:7] offset:624
	ds_write_b128 v72, v[28:31]
	ds_write_b128 v72, v[32:35] offset:416
	ds_write_b128 v56, v[8:11] offset:1040
	;; [unrolled: 1-line block ×11, first 2 shown]
	s_waitcnt lgkmcnt(0)
	s_barrier
	buffer_gl0_inv
	s_and_saveexec_b32 s0, vcc_lo
	s_cbranch_execz .LBB0_19
; %bb.18:
	v_mul_u32_u24_e32 v0, 6, v108
	v_add_nc_u32_e32 v1, 13, v108
	v_mul_hi_u32 v100, 0x4ec4ec4f, v108
	v_mul_lo_u32 v98, s5, v106
	v_mul_lo_u32 v99, s4, v107
	v_lshlrev_b32_e32 v12, 4, v0
	v_mul_u32_u24_e32 v13, 6, v1
	v_mad_u64_u32 v[102:103], null, s4, v106, 0
	v_add_nc_u32_e32 v106, 13, v108
	s_clause 0x5
	global_load_dwordx4 v[0:3], v12, s[12:13] offset:256
	global_load_dwordx4 v[4:7], v12, s[12:13] offset:240
	;; [unrolled: 1-line block ×6, first 2 shown]
	v_lshlrev_b32_e32 v24, 4, v13
	v_lshrrev_b32_e32 v113, 3, v100
	s_mov_b32 s20, 0xe976ee23
	v_mul_hi_u32 v107, 0x4ec4ec4f, v106
	s_clause 0x5
	global_load_dwordx4 v[12:15], v24, s[12:13] offset:256
	global_load_dwordx4 v[32:35], v24, s[12:13] offset:240
	;; [unrolled: 1-line block ×6, first 2 shown]
	ds_read_b128 v[48:51], v72 offset:1872
	ds_read_b128 v[60:63], v72 offset:1664
	ds_read_b128 v[52:55], v72 offset:1456
	ds_read_b128 v[64:67], v72 offset:1248
	ds_read_b128 v[56:59], v72 offset:1040
	ds_read_b128 v[68:71], v72 offset:832
	ds_read_b128 v[74:77], v72 offset:2288
	ds_read_b128 v[78:81], v72 offset:2080
	ds_read_b128 v[82:85], v72 offset:624
	ds_read_b128 v[86:89], v72 offset:416
	ds_read_b128 v[90:93], v72 offset:2704
	ds_read_b128 v[94:97], v72 offset:2496
	v_add3_u32 v103, v103, v99, v98
	ds_read_b128 v[98:101], v72 offset:208
	ds_read_b128 v[109:112], v73
	v_lshlrev_b64 v[72:73], 4, v[104:105]
	v_mul_lo_u32 v104, v113, 26
	v_lshrrev_b32_e32 v119, 3, v107
	v_lshlrev_b64 v[102:103], 4, v[102:103]
	s_mov_b32 s16, 0x36b3c0b5
	s_mov_b32 s22, 0x37e14327
	;; [unrolled: 1-line block ×3, first 2 shown]
	v_mul_lo_u32 v105, v119, 26
	s_mov_b32 s21, 0xbfe11646
	v_sub_nc_u32_e32 v121, v108, v104
	v_add_co_u32 v102, vcc_lo, s10, v102
	v_add_co_ci_u32_e32 v103, vcc_lo, s11, v103, vcc_lo
	v_add_nc_u32_e32 v123, 26, v121
	v_add_co_u32 v157, vcc_lo, v102, v72
	v_add_nc_u32_e32 v125, 52, v121
	v_add_co_ci_u32_e32 v158, vcc_lo, v103, v73, vcc_lo
	v_add_nc_u32_e32 v126, 0x4e, v121
	v_mad_u64_u32 v[103:104], null, s2, v123, 0
	v_add_nc_u32_e32 v127, 0x68, v121
	v_add_nc_u32_e32 v128, 0x82, v121
	v_mad_u64_u32 v[72:73], null, s2, v121, 0
	v_add_nc_u32_e32 v129, 0x9c, v121
	v_sub_nc_u32_e32 v102, v106, v105
	v_mad_u64_u32 v[105:106], null, s2, v125, 0
	v_mad_u64_u32 v[107:108], null, s2, v126, 0
	;; [unrolled: 1-line block ×6, first 2 shown]
	s_waitcnt lgkmcnt(7)
	v_mad_u64_u32 v[120:121], null, s3, v121, v[73:74]
	v_mov_b32_e32 v73, v104
	v_mov_b32_e32 v102, v106
	;; [unrolled: 1-line block ×6, first 2 shown]
	v_mad_u64_u32 v[121:122], null, s2, v119, 0
	v_mad_u64_u32 v[123:124], null, s3, v123, v[73:74]
	v_add_nc_u32_e32 v141, 26, v119
	v_mad_u64_u32 v[124:125], null, s3, v125, v[102:103]
	v_mad_u64_u32 v[125:126], null, s3, v126, v[104:105]
	v_mad_u64_u32 v[126:127], null, s3, v127, v[106:107]
	s_waitcnt lgkmcnt(0)
	v_mad_u64_u32 v[127:128], null, s3, v128, v[108:109]
	v_mad_u64_u32 v[128:129], null, s3, v129, v[114:115]
	;; [unrolled: 1-line block ×3, first 2 shown]
	v_add_nc_u32_e32 v143, 0x4e, v119
	v_add_nc_u32_e32 v144, 0x68, v119
	v_add_nc_u32_e32 v142, 52, v119
	v_add_nc_u32_e32 v145, 0x82, v119
	v_add_nc_u32_e32 v146, 0x9c, v119
	v_mov_b32_e32 v102, v122
	v_mov_b32_e32 v104, v123
	v_mad_u64_u32 v[133:134], null, s2, v143, 0
	v_mad_u64_u32 v[135:136], null, s2, v144, 0
	;; [unrolled: 1-line block ×3, first 2 shown]
	v_mov_b32_e32 v73, v120
	v_mad_u64_u32 v[137:138], null, s2, v145, 0
	v_mad_u64_u32 v[139:140], null, s2, v146, 0
	;; [unrolled: 1-line block ×3, first 2 shown]
	v_lshlrev_b64 v[103:104], 4, v[103:104]
	v_mov_b32_e32 v102, v130
	v_mov_b32_e32 v114, v126
	;; [unrolled: 1-line block ×5, first 2 shown]
	v_mad_u64_u32 v[126:127], null, s3, v141, v[102:103]
	v_mov_b32_e32 v106, v124
	v_mov_b32_e32 v108, v125
	;; [unrolled: 1-line block ×5, first 2 shown]
	v_mad_u64_u32 v[140:141], null, s3, v143, v[122:123]
	v_mov_b32_e32 v118, v128
	v_mad_u64_u32 v[127:128], null, s3, v142, v[120:121]
	v_mad_u64_u32 v[141:142], null, s3, v144, v[123:124]
	;; [unrolled: 1-line block ×4, first 2 shown]
	v_mov_b32_e32 v122, v119
	v_mov_b32_e32 v130, v126
	;; [unrolled: 1-line block ×7, first 2 shown]
	v_lshlrev_b64 v[119:120], 4, v[121:122]
	v_lshlrev_b64 v[121:122], 4, v[129:130]
	;; [unrolled: 1-line block ×7, first 2 shown]
	s_mov_b32 s17, 0x3fac98ee
	s_mov_b32 s23, 0x3fe948f6
	;; [unrolled: 1-line block ×13, first 2 shown]
	v_lshlrev_b64 v[72:73], 4, v[72:73]
	s_mov_b32 s0, 0x37c3f68c
	s_mov_b32 s1, 0x3fdc38aa
	v_lshlrev_b64 v[105:106], 4, v[105:106]
	v_lshlrev_b64 v[107:108], 4, v[107:108]
	;; [unrolled: 1-line block ×3, first 2 shown]
	v_add_co_u32 v72, vcc_lo, v157, v72
	v_add_co_ci_u32_e32 v73, vcc_lo, v158, v73, vcc_lo
	v_add_co_u32 v102, vcc_lo, v157, v103
	v_add_co_ci_u32_e32 v103, vcc_lo, v158, v104, vcc_lo
	;; [unrolled: 2-line block ×3, first 2 shown]
	v_lshlrev_b64 v[115:116], 4, v[115:116]
	v_add_co_u32 v106, vcc_lo, v157, v107
	v_add_co_ci_u32_e32 v107, vcc_lo, v158, v108, vcc_lo
	v_lshlrev_b64 v[117:118], 4, v[117:118]
	v_add_co_u32 v113, vcc_lo, v157, v113
	v_add_co_ci_u32_e32 v114, vcc_lo, v158, v114, vcc_lo
	v_add_co_u32 v115, vcc_lo, v157, v115
	v_add_co_ci_u32_e32 v116, vcc_lo, v158, v116, vcc_lo
	;; [unrolled: 2-line block ×6, first 2 shown]
	s_waitcnt vmcnt(11)
	v_mul_f64 v[133:134], v[2:3], v[62:63]
	s_waitcnt vmcnt(10)
	v_mul_f64 v[135:136], v[6:7], v[66:67]
	s_waitcnt vmcnt(9)
	v_mul_f64 v[137:138], v[10:11], v[70:71]
	s_waitcnt vmcnt(8)
	v_mul_f64 v[139:140], v[46:47], v[80:81]
	s_waitcnt vmcnt(7)
	v_mul_f64 v[141:142], v[38:39], v[88:89]
	s_waitcnt vmcnt(6)
	v_mul_f64 v[143:144], v[42:43], v[96:97]
	v_mul_f64 v[70:71], v[8:9], v[70:71]
	v_mul_f64 v[80:81], v[44:45], v[80:81]
	;; [unrolled: 1-line block ×6, first 2 shown]
	s_waitcnt vmcnt(3)
	v_mul_f64 v[149:150], v[18:19], v[58:59]
	s_waitcnt vmcnt(2)
	v_mul_f64 v[151:152], v[30:31], v[76:77]
	;; [unrolled: 2-line block ×4, first 2 shown]
	v_mul_f64 v[58:59], v[16:17], v[58:59]
	v_mul_f64 v[76:77], v[28:29], v[76:77]
	;; [unrolled: 1-line block ×8, first 2 shown]
	v_fma_f64 v[0:1], v[0:1], v[60:61], -v[133:134]
	v_fma_f64 v[4:5], v[4:5], v[64:65], -v[135:136]
	;; [unrolled: 1-line block ×6, first 2 shown]
	v_fma_f64 v[10:11], v[68:69], v[10:11], v[70:71]
	v_fma_f64 v[46:47], v[78:79], v[46:47], v[80:81]
	;; [unrolled: 1-line block ×6, first 2 shown]
	v_fma_f64 v[16:17], v[16:17], v[56:57], -v[149:150]
	v_fma_f64 v[28:29], v[28:29], v[74:75], -v[151:152]
	;; [unrolled: 1-line block ×4, first 2 shown]
	v_fma_f64 v[18:19], v[56:57], v[18:19], v[58:59]
	v_fma_f64 v[30:31], v[74:75], v[30:31], v[76:77]
	v_fma_f64 v[22:23], v[82:83], v[22:23], v[84:85]
	v_fma_f64 v[26:27], v[90:91], v[26:27], v[92:93]
	v_fma_f64 v[12:13], v[12:13], v[48:49], -v[145:146]
	v_fma_f64 v[32:33], v[32:33], v[52:53], -v[147:148]
	v_fma_f64 v[34:35], v[52:53], v[34:35], v[54:55]
	v_fma_f64 v[14:15], v[48:49], v[14:15], v[50:51]
	v_add_f64 v[48:49], v[0:1], -v[4:5]
	v_add_f64 v[50:51], v[8:9], -v[44:45]
	v_add_f64 v[0:1], v[0:1], v[4:5]
	v_add_f64 v[4:5], v[8:9], v[44:45]
	;; [unrolled: 1-line block ×4, first 2 shown]
	v_add_f64 v[52:53], v[36:37], -v[40:41]
	v_add_f64 v[60:61], v[38:39], v[42:43]
	v_add_co_u32 v56, vcc_lo, v157, v125
	v_add_f64 v[54:55], v[2:3], v[6:7]
	v_add_f64 v[2:3], v[2:3], -v[6:7]
	v_add_f64 v[6:7], v[10:11], -v[46:47]
	;; [unrolled: 1-line block ×5, first 2 shown]
	v_add_f64 v[44:45], v[18:19], v[30:31]
	v_add_f64 v[46:47], v[22:23], v[26:27]
	;; [unrolled: 1-line block ×4, first 2 shown]
	v_add_f64 v[36:37], v[12:13], -v[32:33]
	v_add_f64 v[42:43], v[14:15], v[34:35]
	v_add_f64 v[14:15], v[14:15], -v[34:35]
	v_add_f64 v[12:13], v[12:13], v[32:33]
	v_add_f64 v[18:19], v[18:19], -v[30:31]
	v_add_f64 v[22:23], v[22:23], -v[26:27]
	v_add_f64 v[62:63], v[4:5], v[8:9]
	v_add_f64 v[24:25], v[48:49], v[50:51]
	v_add_f64 v[26:27], v[48:49], -v[50:51]
	v_add_f64 v[34:35], v[58:59], v[60:61]
	v_add_f64 v[64:65], v[8:9], -v[0:1]
	v_add_f64 v[50:51], v[50:51], -v[52:53]
	;; [unrolled: 1-line block ×4, first 2 shown]
	v_add_f64 v[66:67], v[2:3], v[6:7]
	v_add_f64 v[68:69], v[2:3], -v[6:7]
	v_add_f64 v[58:59], v[58:59], -v[60:61]
	;; [unrolled: 1-line block ×4, first 2 shown]
	v_add_f64 v[6:7], v[44:45], v[46:47]
	v_add_f64 v[28:29], v[52:53], -v[48:49]
	v_add_f64 v[76:77], v[16:17], v[20:21]
	v_add_f64 v[2:3], v[36:37], v[38:39]
	v_add_f64 v[48:49], v[0:1], -v[4:5]
	v_add_f64 v[8:9], v[4:5], -v[8:9]
	v_add_f64 v[4:5], v[36:37], -v[38:39]
	v_add_f64 v[74:75], v[42:43], -v[44:45]
	v_add_f64 v[78:79], v[46:47], -v[42:43]
	v_add_f64 v[80:81], v[12:13], -v[16:17]
	v_add_f64 v[82:83], v[20:21], -v[12:13]
	v_add_f64 v[84:85], v[14:15], v[18:19]
	v_add_f64 v[34:35], v[54:55], v[34:35]
	;; [unrolled: 1-line block ×3, first 2 shown]
	v_add_f64 v[86:87], v[14:15], -v[18:19]
	v_add_f64 v[38:39], v[38:39], -v[40:41]
	;; [unrolled: 1-line block ×6, first 2 shown]
	v_add_f64 v[20:21], v[24:25], v[52:53]
	v_mul_f64 v[24:25], v[26:27], s[20:21]
	v_add_f64 v[42:43], v[42:43], v[6:7]
	v_mul_f64 v[26:27], v[30:31], s[16:17]
	;; [unrolled: 2-line block ×3, first 2 shown]
	v_mul_f64 v[46:47], v[64:65], s[22:23]
	v_mul_f64 v[52:53], v[68:69], s[20:21]
	;; [unrolled: 1-line block ×3, first 2 shown]
	v_add_f64 v[40:41], v[2:3], v[40:41]
	v_mul_f64 v[64:65], v[48:49], s[16:17]
	v_add_f64 v[10:11], v[66:67], v[10:11]
	v_mul_f64 v[66:67], v[60:61], s[6:7]
	v_add_f64 v[14:15], v[22:23], -v[14:15]
	v_add_f64 v[2:3], v[111:112], v[34:35]
	v_add_f64 v[0:1], v[109:110], v[54:55]
	v_mul_f64 v[68:69], v[4:5], s[20:21]
	v_mul_f64 v[78:79], v[78:79], s[22:23]
	;; [unrolled: 1-line block ×3, first 2 shown]
	v_add_f64 v[22:23], v[84:85], v[22:23]
	v_mul_f64 v[84:85], v[86:87], s[20:21]
	v_mul_f64 v[86:87], v[38:39], s[6:7]
	;; [unrolled: 1-line block ×4, first 2 shown]
	v_add_f64 v[6:7], v[100:101], v[42:43]
	v_mul_f64 v[88:89], v[80:81], s[16:17]
	v_add_f64 v[4:5], v[98:99], v[12:13]
	v_fma_f64 v[92:93], v[28:29], s[12:13], v[24:25]
	v_fma_f64 v[30:31], v[30:31], s[16:17], v[32:33]
	;; [unrolled: 1-line block ×4, first 2 shown]
	v_fma_f64 v[28:29], v[28:29], s[14:15], -v[62:63]
	v_fma_f64 v[32:33], v[58:59], s[18:19], -v[32:33]
	;; [unrolled: 1-line block ×5, first 2 shown]
	v_fma_f64 v[34:35], v[34:35], s[4:5], v[2:3]
	v_fma_f64 v[52:53], v[54:55], s[4:5], v[0:1]
	v_fma_f64 v[46:47], v[8:9], s[18:19], -v[46:47]
	v_fma_f64 v[62:63], v[70:71], s[14:15], -v[66:67]
	;; [unrolled: 1-line block ×3, first 2 shown]
	v_fma_f64 v[54:55], v[36:37], s[12:13], v[68:69]
	v_fma_f64 v[58:59], v[74:75], s[16:17], v[78:79]
	;; [unrolled: 1-line block ×4, first 2 shown]
	v_fma_f64 v[36:37], v[36:37], s[14:15], -v[86:87]
	v_fma_f64 v[42:43], v[42:43], s[4:5], v[6:7]
	v_fma_f64 v[66:67], v[44:45], s[18:19], -v[78:79]
	v_fma_f64 v[12:13], v[12:13], s[4:5], v[4:5]
	v_fma_f64 v[70:71], v[16:17], s[18:19], -v[82:83]
	v_fma_f64 v[14:15], v[14:15], s[14:15], -v[90:91]
	;; [unrolled: 1-line block ×6, first 2 shown]
	v_fma_f64 v[68:69], v[20:21], s[0:1], v[92:93]
	v_fma_f64 v[74:75], v[10:11], s[0:1], v[94:95]
	;; [unrolled: 1-line block ×4, first 2 shown]
	v_add_f64 v[30:31], v[30:31], v[34:35]
	v_add_f64 v[48:49], v[48:49], v[52:53]
	;; [unrolled: 1-line block ×4, first 2 shown]
	v_fma_f64 v[62:63], v[10:11], s[0:1], v[62:63]
	v_fma_f64 v[24:25], v[10:11], s[0:1], v[50:51]
	v_add_f64 v[46:47], v[46:47], v[52:53]
	v_add_f64 v[34:35], v[8:9], v[52:53]
	v_fma_f64 v[52:53], v[40:41], s[0:1], v[54:55]
	v_fma_f64 v[64:65], v[22:23], s[0:1], v[64:65]
	v_add_f64 v[54:55], v[58:59], v[42:43]
	v_add_f64 v[58:59], v[60:61], v[12:13]
	;; [unrolled: 4-line block ×4, first 2 shown]
	v_add_co_ci_u32_e32 v57, vcc_lo, v158, v126, vcc_lo
	v_add_f64 v[10:11], v[68:69], v[30:31]
	v_add_f64 v[30:31], v[30:31], -v[68:69]
	v_add_f64 v[14:15], v[28:29], v[32:33]
	v_add_f64 v[18:19], v[26:27], -v[20:21]
	;; [unrolled: 2-line block ×3, first 2 shown]
	v_add_f64 v[28:29], v[74:75], v[48:49]
	v_add_f64 v[16:17], v[24:25], v[34:35]
	v_add_f64 v[20:21], v[34:35], -v[24:25]
	v_add_f64 v[24:25], v[62:63], v[46:47]
	v_add_f64 v[12:13], v[46:47], -v[62:63]
	v_add_f64 v[8:9], v[48:49], -v[74:75]
	v_add_f64 v[34:35], v[52:53], v[54:55]
	v_add_f64 v[54:55], v[54:55], -v[52:53]
	v_add_f64 v[52:53], v[64:65], v[58:59]
	v_add_f64 v[38:39], v[36:37], v[50:51]
	v_add_f64 v[50:51], v[50:51], -v[36:37]
	v_add_f64 v[48:49], v[76:77], v[60:61]
	v_add_f64 v[42:43], v[44:45], -v[40:41]
	;; [unrolled: 2-line block ×4, first 2 shown]
	v_add_f64 v[32:33], v[58:59], -v[64:65]
	v_add_co_u32 v70, vcc_lo, v157, v127
	v_add_co_ci_u32_e32 v71, vcc_lo, v158, v128, vcc_lo
	v_add_co_u32 v58, vcc_lo, v157, v129
	v_add_co_ci_u32_e32 v59, vcc_lo, v158, v130, vcc_lo
	;; [unrolled: 2-line block ×3, first 2 shown]
	global_store_dwordx4 v[72:73], v[0:3], off
	global_store_dwordx4 v[102:103], v[28:31], off
	;; [unrolled: 1-line block ×14, first 2 shown]
.LBB0_19:
	s_endpgm
	.section	.rodata,"a",@progbits
	.p2align	6, 0x0
	.amdhsa_kernel fft_rtc_fwd_len182_factors_13_2_7_wgs_52_tpt_13_dp_op_CI_CI_sbrr_dirReg
		.amdhsa_group_segment_fixed_size 0
		.amdhsa_private_segment_fixed_size 0
		.amdhsa_kernarg_size 104
		.amdhsa_user_sgpr_count 6
		.amdhsa_user_sgpr_private_segment_buffer 1
		.amdhsa_user_sgpr_dispatch_ptr 0
		.amdhsa_user_sgpr_queue_ptr 0
		.amdhsa_user_sgpr_kernarg_segment_ptr 1
		.amdhsa_user_sgpr_dispatch_id 0
		.amdhsa_user_sgpr_flat_scratch_init 0
		.amdhsa_user_sgpr_private_segment_size 0
		.amdhsa_wavefront_size32 1
		.amdhsa_uses_dynamic_stack 0
		.amdhsa_system_sgpr_private_segment_wavefront_offset 0
		.amdhsa_system_sgpr_workgroup_id_x 1
		.amdhsa_system_sgpr_workgroup_id_y 0
		.amdhsa_system_sgpr_workgroup_id_z 0
		.amdhsa_system_sgpr_workgroup_info 0
		.amdhsa_system_vgpr_workitem_id 0
		.amdhsa_next_free_vgpr 236
		.amdhsa_next_free_sgpr 48
		.amdhsa_reserve_vcc 1
		.amdhsa_reserve_flat_scratch 0
		.amdhsa_float_round_mode_32 0
		.amdhsa_float_round_mode_16_64 0
		.amdhsa_float_denorm_mode_32 3
		.amdhsa_float_denorm_mode_16_64 3
		.amdhsa_dx10_clamp 1
		.amdhsa_ieee_mode 1
		.amdhsa_fp16_overflow 0
		.amdhsa_workgroup_processor_mode 1
		.amdhsa_memory_ordered 1
		.amdhsa_forward_progress 0
		.amdhsa_shared_vgpr_count 0
		.amdhsa_exception_fp_ieee_invalid_op 0
		.amdhsa_exception_fp_denorm_src 0
		.amdhsa_exception_fp_ieee_div_zero 0
		.amdhsa_exception_fp_ieee_overflow 0
		.amdhsa_exception_fp_ieee_underflow 0
		.amdhsa_exception_fp_ieee_inexact 0
		.amdhsa_exception_int_div_zero 0
	.end_amdhsa_kernel
	.text
.Lfunc_end0:
	.size	fft_rtc_fwd_len182_factors_13_2_7_wgs_52_tpt_13_dp_op_CI_CI_sbrr_dirReg, .Lfunc_end0-fft_rtc_fwd_len182_factors_13_2_7_wgs_52_tpt_13_dp_op_CI_CI_sbrr_dirReg
                                        ; -- End function
	.section	.AMDGPU.csdata,"",@progbits
; Kernel info:
; codeLenInByte = 13952
; NumSgprs: 50
; NumVgprs: 236
; ScratchSize: 0
; MemoryBound: 1
; FloatMode: 240
; IeeeMode: 1
; LDSByteSize: 0 bytes/workgroup (compile time only)
; SGPRBlocks: 6
; VGPRBlocks: 29
; NumSGPRsForWavesPerEU: 50
; NumVGPRsForWavesPerEU: 236
; Occupancy: 4
; WaveLimiterHint : 1
; COMPUTE_PGM_RSRC2:SCRATCH_EN: 0
; COMPUTE_PGM_RSRC2:USER_SGPR: 6
; COMPUTE_PGM_RSRC2:TRAP_HANDLER: 0
; COMPUTE_PGM_RSRC2:TGID_X_EN: 1
; COMPUTE_PGM_RSRC2:TGID_Y_EN: 0
; COMPUTE_PGM_RSRC2:TGID_Z_EN: 0
; COMPUTE_PGM_RSRC2:TIDIG_COMP_CNT: 0
	.text
	.p2alignl 6, 3214868480
	.fill 48, 4, 3214868480
	.type	__hip_cuid_8b512d73b82cfff8,@object ; @__hip_cuid_8b512d73b82cfff8
	.section	.bss,"aw",@nobits
	.globl	__hip_cuid_8b512d73b82cfff8
__hip_cuid_8b512d73b82cfff8:
	.byte	0                               ; 0x0
	.size	__hip_cuid_8b512d73b82cfff8, 1

	.ident	"AMD clang version 19.0.0git (https://github.com/RadeonOpenCompute/llvm-project roc-6.4.0 25133 c7fe45cf4b819c5991fe208aaa96edf142730f1d)"
	.section	".note.GNU-stack","",@progbits
	.addrsig
	.addrsig_sym __hip_cuid_8b512d73b82cfff8
	.amdgpu_metadata
---
amdhsa.kernels:
  - .args:
      - .actual_access:  read_only
        .address_space:  global
        .offset:         0
        .size:           8
        .value_kind:     global_buffer
      - .offset:         8
        .size:           8
        .value_kind:     by_value
      - .actual_access:  read_only
        .address_space:  global
        .offset:         16
        .size:           8
        .value_kind:     global_buffer
      - .actual_access:  read_only
        .address_space:  global
        .offset:         24
        .size:           8
        .value_kind:     global_buffer
      - .actual_access:  read_only
        .address_space:  global
        .offset:         32
        .size:           8
        .value_kind:     global_buffer
      - .offset:         40
        .size:           8
        .value_kind:     by_value
      - .actual_access:  read_only
        .address_space:  global
        .offset:         48
        .size:           8
        .value_kind:     global_buffer
      - .actual_access:  read_only
        .address_space:  global
        .offset:         56
        .size:           8
        .value_kind:     global_buffer
      - .offset:         64
        .size:           4
        .value_kind:     by_value
      - .actual_access:  read_only
        .address_space:  global
        .offset:         72
        .size:           8
        .value_kind:     global_buffer
      - .actual_access:  read_only
        .address_space:  global
        .offset:         80
        .size:           8
        .value_kind:     global_buffer
      - .actual_access:  read_only
        .address_space:  global
        .offset:         88
        .size:           8
        .value_kind:     global_buffer
      - .actual_access:  write_only
        .address_space:  global
        .offset:         96
        .size:           8
        .value_kind:     global_buffer
    .group_segment_fixed_size: 0
    .kernarg_segment_align: 8
    .kernarg_segment_size: 104
    .language:       OpenCL C
    .language_version:
      - 2
      - 0
    .max_flat_workgroup_size: 52
    .name:           fft_rtc_fwd_len182_factors_13_2_7_wgs_52_tpt_13_dp_op_CI_CI_sbrr_dirReg
    .private_segment_fixed_size: 0
    .sgpr_count:     50
    .sgpr_spill_count: 0
    .symbol:         fft_rtc_fwd_len182_factors_13_2_7_wgs_52_tpt_13_dp_op_CI_CI_sbrr_dirReg.kd
    .uniform_work_group_size: 1
    .uses_dynamic_stack: false
    .vgpr_count:     236
    .vgpr_spill_count: 0
    .wavefront_size: 32
    .workgroup_processor_mode: 1
amdhsa.target:   amdgcn-amd-amdhsa--gfx1030
amdhsa.version:
  - 1
  - 2
...

	.end_amdgpu_metadata
